;; amdgpu-corpus repo=ROCm/rccl kind=compiled arch=gfx1250 opt=O3
	.amdgcn_target "amdgcn-amd-amdhsa--gfx1250"
	.amdhsa_code_object_version 6
	.text
	.p2align	2                               ; -- Begin function __ockl_fprintf_append_string_n
	.type	__ockl_fprintf_append_string_n,@function
__ockl_fprintf_append_string_n:         ; @__ockl_fprintf_append_string_n
; %bb.0:
	s_wait_loadcnt_dscnt 0x0
	s_wait_kmcnt 0x0
	v_or_b32_e32 v2, 2, v0
	v_cmp_eq_u32_e32 vcc_lo, 0, v6
	v_mbcnt_lo_u32_b32 v30, -1, 0
	s_get_pc_i64 s[0:1]
	s_add_nc_u64 s[0:1], s[0:1], .str.3@rel64+4
	s_mov_b32 s6, 0
	s_cmp_lg_u64 s[0:1], 0
	v_cndmask_b32_e32 v3, v2, v0, vcc_lo
	s_cbranch_scc0 .LBB0_113
; %bb.1:
	s_load_b64 s[2:3], s[8:9], 0x50
	s_delay_alu instid0(VALU_DEP_1) | instskip(SKIP_3) | instid1(VALU_DEP_4)
	v_dual_mov_b32 v7, 0 :: v_dual_bitop2_b32 v0, -3, v3 bitop3:0x40
	v_mov_b64_e32 v[8:9], 0x100000002
	v_mov_b64_e32 v[32:33], s[0:1]
	v_and_b32_e32 v2, 2, v3
	v_mov_b64_e32 v[10:11], v[0:1]
	s_mov_b32 s7, 0
	s_branch .LBB0_3
.LBB0_2:                                ;   in Loop: Header=BB0_3 Depth=1
	s_or_b32 exec_lo, exec_lo, s10
	v_sub_nc_u64_e32 v[4:5], v[4:5], v[34:35]
	v_add_nc_u64_e32 v[32:33], v[32:33], v[34:35]
	s_delay_alu instid0(VALU_DEP_2) | instskip(SKIP_1) | instid1(SALU_CYCLE_1)
	v_cmp_eq_u64_e32 vcc_lo, 0, v[4:5]
	s_or_b32 s7, vcc_lo, s7
	s_and_not1_b32 exec_lo, exec_lo, s7
	s_cbranch_execz .LBB0_85
.LBB0_3:                                ; =>This Loop Header: Depth=1
                                        ;     Child Loop BB0_6 Depth 2
                                        ;     Child Loop BB0_14 Depth 2
	;; [unrolled: 1-line block ×11, first 2 shown]
	v_min_u64 v[34:35], v[4:5], 56
	s_delay_alu instid0(VALU_DEP_3)
	v_add_nc_u64_e32 v[16:17], 8, v[32:33]
	s_mov_b32 s0, exec_lo
	v_cmpx_gt_u64_e32 8, v[4:5]
	s_xor_b32 s4, exec_lo, s0
	s_cbranch_execz .LBB0_9
; %bb.4:                                ;   in Loop: Header=BB0_3 Depth=1
	s_wait_loadcnt 0x0
	v_mov_b64_e32 v[12:13], 0
	s_mov_b32 s5, exec_lo
	v_cmpx_ne_u64_e32 0, v[4:5]
	s_cbranch_execz .LBB0_8
; %bb.5:                                ;   in Loop: Header=BB0_3 Depth=1
	v_mov_b64_e32 v[12:13], 0
	v_mov_b64_e32 v[14:15], v[32:33]
	v_lshlrev_b32_e32 v0, 3, v34
	s_mov_b64 s[0:1], 0
	s_mov_b32 s10, 0
.LBB0_6:                                ;   Parent Loop BB0_3 Depth=1
                                        ; =>  This Inner Loop Header: Depth=2
	global_load_u8 v6, v[14:15], off
	v_mov_b32_e32 v17, s6
	s_wait_xcnt 0x0
	v_add_nc_u64_e32 v[14:15], 1, v[14:15]
	s_wait_loadcnt 0x0
	v_and_b32_e32 v16, 0xffff, v6
	s_delay_alu instid0(VALU_DEP_1) | instskip(SKIP_1) | instid1(SALU_CYCLE_1)
	v_lshlrev_b64_e32 v[16:17], s0, v[16:17]
	s_add_nc_u64 s[0:1], s[0:1], 8
	v_cmp_eq_u32_e32 vcc_lo, s0, v0
	s_delay_alu instid0(VALU_DEP_2) | instskip(NEXT) | instid1(VALU_DEP_3)
	v_or_b32_e32 v13, v17, v13
	v_or_b32_e32 v12, v16, v12
	s_or_b32 s10, vcc_lo, s10
	s_delay_alu instid0(SALU_CYCLE_1)
	s_and_not1_b32 exec_lo, exec_lo, s10
	s_cbranch_execnz .LBB0_6
; %bb.7:                                ;   in Loop: Header=BB0_3 Depth=1
	s_or_b32 exec_lo, exec_lo, s10
.LBB0_8:                                ;   in Loop: Header=BB0_3 Depth=1
	s_delay_alu instid0(SALU_CYCLE_1)
	s_or_b32 exec_lo, exec_lo, s5
	v_mov_b64_e32 v[16:17], v[32:33]
.LBB0_9:                                ;   in Loop: Header=BB0_3 Depth=1
	s_or_saveexec_b32 s0, s4
	v_mov_b32_e32 v0, 0
	s_xor_b32 exec_lo, exec_lo, s0
	s_cbranch_execz .LBB0_11
; %bb.10:                               ;   in Loop: Header=BB0_3 Depth=1
	s_wait_loadcnt 0x0
	global_load_b64 v[12:13], v[32:33], off
	v_add_nc_u32_e32 v0, -8, v34
.LBB0_11:                               ;   in Loop: Header=BB0_3 Depth=1
	s_wait_xcnt 0x0
	s_or_b32 exec_lo, exec_lo, s0
	v_add_nc_u64_e32 v[18:19], 8, v[16:17]
                                        ; implicit-def: $vgpr14_vgpr15
	s_mov_b32 s0, exec_lo
	v_cmpx_gt_u32_e32 8, v0
	s_xor_b32 s10, exec_lo, s0
	s_cbranch_execz .LBB0_17
; %bb.12:                               ;   in Loop: Header=BB0_3 Depth=1
	v_mov_b64_e32 v[14:15], 0
	s_mov_b32 s11, exec_lo
	v_cmpx_ne_u32_e32 0, v0
	s_cbranch_execz .LBB0_16
; %bb.13:                               ;   in Loop: Header=BB0_3 Depth=1
	v_mov_b64_e32 v[14:15], 0
	s_mov_b64 s[0:1], 0
	s_mov_b32 s12, 0
	s_mov_b64 s[4:5], 0
.LBB0_14:                               ;   Parent Loop BB0_3 Depth=1
                                        ; =>  This Inner Loop Header: Depth=2
	s_delay_alu instid0(SALU_CYCLE_1) | instskip(SKIP_1) | instid1(SALU_CYCLE_1)
	v_add_nc_u64_e32 v[18:19], s[4:5], v[16:17]
	s_add_nc_u64 s[4:5], s[4:5], 1
	v_cmp_eq_u32_e32 vcc_lo, s4, v0
	global_load_u8 v6, v[18:19], off
	s_wait_xcnt 0x0
	v_mov_b32_e32 v19, s6
	s_or_b32 s12, vcc_lo, s12
	s_wait_loadcnt 0x0
	v_and_b32_e32 v18, 0xffff, v6
	s_delay_alu instid0(VALU_DEP_1) | instskip(SKIP_1) | instid1(VALU_DEP_1)
	v_lshlrev_b64_e32 v[18:19], s0, v[18:19]
	s_add_nc_u64 s[0:1], s[0:1], 8
	v_or_b32_e32 v15, v19, v15
	s_delay_alu instid0(VALU_DEP_2)
	v_or_b32_e32 v14, v18, v14
	s_and_not1_b32 exec_lo, exec_lo, s12
	s_cbranch_execnz .LBB0_14
; %bb.15:                               ;   in Loop: Header=BB0_3 Depth=1
	s_or_b32 exec_lo, exec_lo, s12
.LBB0_16:                               ;   in Loop: Header=BB0_3 Depth=1
	s_delay_alu instid0(SALU_CYCLE_1)
	s_or_b32 exec_lo, exec_lo, s11
	v_mov_b64_e32 v[18:19], v[16:17]
                                        ; implicit-def: $vgpr0
.LBB0_17:                               ;   in Loop: Header=BB0_3 Depth=1
	s_or_saveexec_b32 s0, s10
	v_mov_b32_e32 v6, 0
	s_xor_b32 exec_lo, exec_lo, s0
	s_cbranch_execz .LBB0_19
; %bb.18:                               ;   in Loop: Header=BB0_3 Depth=1
	global_load_b64 v[14:15], v[16:17], off
	v_add_nc_u32_e32 v6, -8, v0
.LBB0_19:                               ;   in Loop: Header=BB0_3 Depth=1
	s_wait_xcnt 0x0
	s_or_b32 exec_lo, exec_lo, s0
	v_add_nc_u64_e32 v[20:21], 8, v[18:19]
	s_mov_b32 s0, exec_lo
	v_cmpx_gt_u32_e32 8, v6
	s_xor_b32 s10, exec_lo, s0
	s_cbranch_execz .LBB0_25
; %bb.20:                               ;   in Loop: Header=BB0_3 Depth=1
	v_mov_b64_e32 v[16:17], 0
	s_mov_b32 s11, exec_lo
	v_cmpx_ne_u32_e32 0, v6
	s_cbranch_execz .LBB0_24
; %bb.21:                               ;   in Loop: Header=BB0_3 Depth=1
	v_mov_b64_e32 v[16:17], 0
	s_mov_b64 s[0:1], 0
	s_mov_b32 s12, 0
	s_mov_b64 s[4:5], 0
.LBB0_22:                               ;   Parent Loop BB0_3 Depth=1
                                        ; =>  This Inner Loop Header: Depth=2
	s_delay_alu instid0(SALU_CYCLE_1) | instskip(SKIP_1) | instid1(SALU_CYCLE_1)
	v_add_nc_u64_e32 v[20:21], s[4:5], v[18:19]
	s_add_nc_u64 s[4:5], s[4:5], 1
	v_cmp_eq_u32_e32 vcc_lo, s4, v6
	global_load_u8 v0, v[20:21], off
	s_wait_xcnt 0x0
	v_mov_b32_e32 v21, s6
	s_or_b32 s12, vcc_lo, s12
	s_wait_loadcnt 0x0
	v_and_b32_e32 v20, 0xffff, v0
	s_delay_alu instid0(VALU_DEP_1) | instskip(SKIP_1) | instid1(VALU_DEP_1)
	v_lshlrev_b64_e32 v[20:21], s0, v[20:21]
	s_add_nc_u64 s[0:1], s[0:1], 8
	v_or_b32_e32 v17, v21, v17
	s_delay_alu instid0(VALU_DEP_2)
	v_or_b32_e32 v16, v20, v16
	s_and_not1_b32 exec_lo, exec_lo, s12
	s_cbranch_execnz .LBB0_22
; %bb.23:                               ;   in Loop: Header=BB0_3 Depth=1
	s_or_b32 exec_lo, exec_lo, s12
.LBB0_24:                               ;   in Loop: Header=BB0_3 Depth=1
	s_delay_alu instid0(SALU_CYCLE_1)
	s_or_b32 exec_lo, exec_lo, s11
	v_mov_b64_e32 v[20:21], v[18:19]
                                        ; implicit-def: $vgpr6
.LBB0_25:                               ;   in Loop: Header=BB0_3 Depth=1
	s_or_saveexec_b32 s0, s10
	v_mov_b32_e32 v0, 0
	s_xor_b32 exec_lo, exec_lo, s0
	s_cbranch_execz .LBB0_27
; %bb.26:                               ;   in Loop: Header=BB0_3 Depth=1
	global_load_b64 v[16:17], v[18:19], off
	v_add_nc_u32_e32 v0, -8, v6
.LBB0_27:                               ;   in Loop: Header=BB0_3 Depth=1
	s_wait_xcnt 0x0
	s_or_b32 exec_lo, exec_lo, s0
	v_add_nc_u64_e32 v[22:23], 8, v[20:21]
                                        ; implicit-def: $vgpr18_vgpr19
	s_mov_b32 s0, exec_lo
	v_cmpx_gt_u32_e32 8, v0
	s_xor_b32 s10, exec_lo, s0
	s_cbranch_execz .LBB0_33
; %bb.28:                               ;   in Loop: Header=BB0_3 Depth=1
	v_mov_b64_e32 v[18:19], 0
	s_mov_b32 s11, exec_lo
	v_cmpx_ne_u32_e32 0, v0
	s_cbranch_execz .LBB0_32
; %bb.29:                               ;   in Loop: Header=BB0_3 Depth=1
	v_mov_b64_e32 v[18:19], 0
	s_mov_b64 s[0:1], 0
	s_mov_b32 s12, 0
	s_mov_b64 s[4:5], 0
.LBB0_30:                               ;   Parent Loop BB0_3 Depth=1
                                        ; =>  This Inner Loop Header: Depth=2
	s_delay_alu instid0(SALU_CYCLE_1) | instskip(SKIP_1) | instid1(SALU_CYCLE_1)
	v_add_nc_u64_e32 v[22:23], s[4:5], v[20:21]
	s_add_nc_u64 s[4:5], s[4:5], 1
	v_cmp_eq_u32_e32 vcc_lo, s4, v0
	global_load_u8 v6, v[22:23], off
	s_wait_xcnt 0x0
	v_mov_b32_e32 v23, s6
	s_or_b32 s12, vcc_lo, s12
	s_wait_loadcnt 0x0
	v_and_b32_e32 v22, 0xffff, v6
	s_delay_alu instid0(VALU_DEP_1) | instskip(SKIP_1) | instid1(VALU_DEP_1)
	v_lshlrev_b64_e32 v[22:23], s0, v[22:23]
	s_add_nc_u64 s[0:1], s[0:1], 8
	v_or_b32_e32 v19, v23, v19
	s_delay_alu instid0(VALU_DEP_2)
	v_or_b32_e32 v18, v22, v18
	s_and_not1_b32 exec_lo, exec_lo, s12
	s_cbranch_execnz .LBB0_30
; %bb.31:                               ;   in Loop: Header=BB0_3 Depth=1
	s_or_b32 exec_lo, exec_lo, s12
.LBB0_32:                               ;   in Loop: Header=BB0_3 Depth=1
	s_delay_alu instid0(SALU_CYCLE_1)
	s_or_b32 exec_lo, exec_lo, s11
	v_mov_b64_e32 v[22:23], v[20:21]
                                        ; implicit-def: $vgpr0
.LBB0_33:                               ;   in Loop: Header=BB0_3 Depth=1
	s_or_saveexec_b32 s0, s10
	v_mov_b32_e32 v6, 0
	s_xor_b32 exec_lo, exec_lo, s0
	s_cbranch_execz .LBB0_35
; %bb.34:                               ;   in Loop: Header=BB0_3 Depth=1
	global_load_b64 v[18:19], v[20:21], off
	v_add_nc_u32_e32 v6, -8, v0
.LBB0_35:                               ;   in Loop: Header=BB0_3 Depth=1
	s_wait_xcnt 0x0
	s_or_b32 exec_lo, exec_lo, s0
	v_add_nc_u64_e32 v[24:25], 8, v[22:23]
	s_mov_b32 s0, exec_lo
	v_cmpx_gt_u32_e32 8, v6
	s_xor_b32 s10, exec_lo, s0
	s_cbranch_execz .LBB0_41
; %bb.36:                               ;   in Loop: Header=BB0_3 Depth=1
	v_mov_b64_e32 v[20:21], 0
	s_mov_b32 s11, exec_lo
	v_cmpx_ne_u32_e32 0, v6
	s_cbranch_execz .LBB0_40
; %bb.37:                               ;   in Loop: Header=BB0_3 Depth=1
	v_mov_b64_e32 v[20:21], 0
	s_mov_b64 s[0:1], 0
	s_mov_b32 s12, 0
	s_mov_b64 s[4:5], 0
.LBB0_38:                               ;   Parent Loop BB0_3 Depth=1
                                        ; =>  This Inner Loop Header: Depth=2
	s_delay_alu instid0(SALU_CYCLE_1) | instskip(SKIP_1) | instid1(SALU_CYCLE_1)
	v_add_nc_u64_e32 v[24:25], s[4:5], v[22:23]
	s_add_nc_u64 s[4:5], s[4:5], 1
	v_cmp_eq_u32_e32 vcc_lo, s4, v6
	global_load_u8 v0, v[24:25], off
	s_wait_xcnt 0x0
	v_mov_b32_e32 v25, s6
	s_or_b32 s12, vcc_lo, s12
	s_wait_loadcnt 0x0
	v_and_b32_e32 v24, 0xffff, v0
	s_delay_alu instid0(VALU_DEP_1) | instskip(SKIP_1) | instid1(VALU_DEP_1)
	v_lshlrev_b64_e32 v[24:25], s0, v[24:25]
	s_add_nc_u64 s[0:1], s[0:1], 8
	v_or_b32_e32 v21, v25, v21
	s_delay_alu instid0(VALU_DEP_2)
	v_or_b32_e32 v20, v24, v20
	s_and_not1_b32 exec_lo, exec_lo, s12
	s_cbranch_execnz .LBB0_38
; %bb.39:                               ;   in Loop: Header=BB0_3 Depth=1
	s_or_b32 exec_lo, exec_lo, s12
.LBB0_40:                               ;   in Loop: Header=BB0_3 Depth=1
	s_delay_alu instid0(SALU_CYCLE_1)
	s_or_b32 exec_lo, exec_lo, s11
	v_mov_b64_e32 v[24:25], v[22:23]
                                        ; implicit-def: $vgpr6
.LBB0_41:                               ;   in Loop: Header=BB0_3 Depth=1
	s_or_saveexec_b32 s0, s10
	v_mov_b32_e32 v0, 0
	s_xor_b32 exec_lo, exec_lo, s0
	s_cbranch_execz .LBB0_43
; %bb.42:                               ;   in Loop: Header=BB0_3 Depth=1
	global_load_b64 v[20:21], v[22:23], off
	v_add_nc_u32_e32 v0, -8, v6
.LBB0_43:                               ;   in Loop: Header=BB0_3 Depth=1
	s_wait_xcnt 0x0
	s_or_b32 exec_lo, exec_lo, s0
	v_add_nc_u64_e32 v[26:27], 8, v[24:25]
                                        ; implicit-def: $vgpr22_vgpr23
	s_mov_b32 s0, exec_lo
	v_cmpx_gt_u32_e32 8, v0
	s_xor_b32 s10, exec_lo, s0
	s_cbranch_execz .LBB0_49
; %bb.44:                               ;   in Loop: Header=BB0_3 Depth=1
	v_mov_b64_e32 v[22:23], 0
	s_mov_b32 s11, exec_lo
	v_cmpx_ne_u32_e32 0, v0
	s_cbranch_execz .LBB0_48
; %bb.45:                               ;   in Loop: Header=BB0_3 Depth=1
	v_mov_b64_e32 v[22:23], 0
	s_mov_b64 s[0:1], 0
	s_mov_b32 s12, 0
	s_mov_b64 s[4:5], 0
.LBB0_46:                               ;   Parent Loop BB0_3 Depth=1
                                        ; =>  This Inner Loop Header: Depth=2
	s_delay_alu instid0(SALU_CYCLE_1) | instskip(SKIP_1) | instid1(SALU_CYCLE_1)
	v_add_nc_u64_e32 v[26:27], s[4:5], v[24:25]
	s_add_nc_u64 s[4:5], s[4:5], 1
	v_cmp_eq_u32_e32 vcc_lo, s4, v0
	global_load_u8 v6, v[26:27], off
	s_wait_xcnt 0x0
	v_mov_b32_e32 v27, s6
	s_or_b32 s12, vcc_lo, s12
	s_wait_loadcnt 0x0
	v_and_b32_e32 v26, 0xffff, v6
	s_delay_alu instid0(VALU_DEP_1) | instskip(SKIP_1) | instid1(VALU_DEP_1)
	v_lshlrev_b64_e32 v[26:27], s0, v[26:27]
	s_add_nc_u64 s[0:1], s[0:1], 8
	v_or_b32_e32 v23, v27, v23
	s_delay_alu instid0(VALU_DEP_2)
	v_or_b32_e32 v22, v26, v22
	s_and_not1_b32 exec_lo, exec_lo, s12
	s_cbranch_execnz .LBB0_46
; %bb.47:                               ;   in Loop: Header=BB0_3 Depth=1
	s_or_b32 exec_lo, exec_lo, s12
.LBB0_48:                               ;   in Loop: Header=BB0_3 Depth=1
	s_delay_alu instid0(SALU_CYCLE_1)
	s_or_b32 exec_lo, exec_lo, s11
	v_mov_b64_e32 v[26:27], v[24:25]
                                        ; implicit-def: $vgpr0
.LBB0_49:                               ;   in Loop: Header=BB0_3 Depth=1
	s_or_saveexec_b32 s0, s10
	v_mov_b32_e32 v6, 0
	s_xor_b32 exec_lo, exec_lo, s0
	s_cbranch_execz .LBB0_51
; %bb.50:                               ;   in Loop: Header=BB0_3 Depth=1
	global_load_b64 v[22:23], v[24:25], off
	v_add_nc_u32_e32 v6, -8, v0
.LBB0_51:                               ;   in Loop: Header=BB0_3 Depth=1
	s_wait_xcnt 0x0
	s_or_b32 exec_lo, exec_lo, s0
	s_delay_alu instid0(SALU_CYCLE_1) | instskip(NEXT) | instid1(VALU_DEP_1)
	s_mov_b32 s0, exec_lo
	v_cmpx_gt_u32_e32 8, v6
	s_xor_b32 s4, exec_lo, s0
	s_cbranch_execz .LBB0_57
; %bb.52:                               ;   in Loop: Header=BB0_3 Depth=1
	v_mov_b64_e32 v[24:25], 0
	s_mov_b32 s5, exec_lo
	v_cmpx_ne_u32_e32 0, v6
	s_cbranch_execz .LBB0_56
; %bb.53:                               ;   in Loop: Header=BB0_3 Depth=1
	v_mov_b64_e32 v[24:25], 0
	s_mov_b64 s[0:1], 0
	s_mov_b32 s10, 0
.LBB0_54:                               ;   Parent Loop BB0_3 Depth=1
                                        ; =>  This Inner Loop Header: Depth=2
	global_load_u8 v0, v[26:27], off
	v_dual_mov_b32 v29, s6 :: v_dual_add_nc_u32 v6, -1, v6
	s_wait_xcnt 0x0
	v_add_nc_u64_e32 v[26:27], 1, v[26:27]
	s_delay_alu instid0(VALU_DEP_2) | instskip(SKIP_3) | instid1(VALU_DEP_1)
	v_cmp_eq_u32_e32 vcc_lo, 0, v6
	s_or_b32 s10, vcc_lo, s10
	s_wait_loadcnt 0x0
	v_and_b32_e32 v28, 0xffff, v0
	v_lshlrev_b64_e32 v[28:29], s0, v[28:29]
	s_add_nc_u64 s[0:1], s[0:1], 8
	s_delay_alu instid0(VALU_DEP_1) | instskip(NEXT) | instid1(VALU_DEP_2)
	v_or_b32_e32 v25, v29, v25
	v_or_b32_e32 v24, v28, v24
	s_and_not1_b32 exec_lo, exec_lo, s10
	s_cbranch_execnz .LBB0_54
; %bb.55:                               ;   in Loop: Header=BB0_3 Depth=1
	s_or_b32 exec_lo, exec_lo, s10
.LBB0_56:                               ;   in Loop: Header=BB0_3 Depth=1
	s_delay_alu instid0(SALU_CYCLE_1)
	s_or_b32 exec_lo, exec_lo, s5
                                        ; implicit-def: $vgpr26_vgpr27
.LBB0_57:                               ;   in Loop: Header=BB0_3 Depth=1
	s_and_not1_saveexec_b32 s0, s4
	s_cbranch_execz .LBB0_59
; %bb.58:                               ;   in Loop: Header=BB0_3 Depth=1
	global_load_b64 v[24:25], v[26:27], off
.LBB0_59:                               ;   in Loop: Header=BB0_3 Depth=1
	s_wait_xcnt 0x0
	s_or_b32 exec_lo, exec_lo, s0
	v_readfirstlane_b32 s0, v30
	v_mov_b64_e32 v[36:37], 0
	s_delay_alu instid0(VALU_DEP_2)
	v_cmp_eq_u32_e64 s0, s0, v30
	s_and_saveexec_b32 s1, s0
	s_cbranch_execz .LBB0_65
; %bb.60:                               ;   in Loop: Header=BB0_3 Depth=1
	s_wait_kmcnt 0x0
	global_load_b64 v[28:29], v7, s[2:3] offset:24 scope:SCOPE_SYS
	s_wait_loadcnt 0x0
	global_inv scope:SCOPE_SYS
	s_clause 0x1
	global_load_b64 v[26:27], v7, s[2:3] offset:40
	global_load_b64 v[36:37], v7, s[2:3]
	s_mov_b32 s4, exec_lo
	s_wait_loadcnt 0x1
	v_and_b32_e32 v26, v26, v28
	v_and_b32_e32 v27, v27, v29
	s_delay_alu instid0(VALU_DEP_1) | instskip(SKIP_1) | instid1(VALU_DEP_1)
	v_mul_u64_e32 v[26:27], 24, v[26:27]
	s_wait_loadcnt 0x0
	v_add_nc_u64_e32 v[26:27], v[36:37], v[26:27]
	global_load_b64 v[26:27], v[26:27], off scope:SCOPE_SYS
	s_wait_xcnt 0x0
	s_wait_loadcnt 0x0
	global_atomic_cmpswap_b64 v[36:37], v7, v[26:29], s[2:3] offset:24 th:TH_ATOMIC_RETURN scope:SCOPE_SYS
	s_wait_loadcnt 0x0
	global_inv scope:SCOPE_SYS
	s_wait_xcnt 0x0
	v_cmpx_ne_u64_e64 v[36:37], v[28:29]
	s_cbranch_execz .LBB0_64
; %bb.61:                               ;   in Loop: Header=BB0_3 Depth=1
	s_mov_b32 s5, 0
.LBB0_62:                               ;   Parent Loop BB0_3 Depth=1
                                        ; =>  This Inner Loop Header: Depth=2
	s_sleep 1
	s_clause 0x1
	global_load_b64 v[26:27], v7, s[2:3] offset:40
	global_load_b64 v[38:39], v7, s[2:3]
	v_mov_b64_e32 v[28:29], v[36:37]
	s_wait_loadcnt 0x1
	s_delay_alu instid0(VALU_DEP_1) | instskip(SKIP_1) | instid1(VALU_DEP_1)
	v_and_b32_e32 v0, v26, v28
	s_wait_loadcnt 0x0
	v_mad_nc_u64_u32 v[36:37], v0, 24, v[38:39]
	s_delay_alu instid0(VALU_DEP_3) | instskip(NEXT) | instid1(VALU_DEP_1)
	v_and_b32_e32 v0, v27, v29
	v_mad_u32 v37, v0, 24, v37
	global_load_b64 v[26:27], v[36:37], off scope:SCOPE_SYS
	s_wait_xcnt 0x0
	s_wait_loadcnt 0x0
	global_atomic_cmpswap_b64 v[36:37], v7, v[26:29], s[2:3] offset:24 th:TH_ATOMIC_RETURN scope:SCOPE_SYS
	s_wait_loadcnt 0x0
	global_inv scope:SCOPE_SYS
	v_cmp_eq_u64_e32 vcc_lo, v[36:37], v[28:29]
	s_or_b32 s5, vcc_lo, s5
	s_wait_xcnt 0x0
	s_and_not1_b32 exec_lo, exec_lo, s5
	s_cbranch_execnz .LBB0_62
; %bb.63:                               ;   in Loop: Header=BB0_3 Depth=1
	s_or_b32 exec_lo, exec_lo, s5
.LBB0_64:                               ;   in Loop: Header=BB0_3 Depth=1
	s_delay_alu instid0(SALU_CYCLE_1)
	s_or_b32 exec_lo, exec_lo, s4
.LBB0_65:                               ;   in Loop: Header=BB0_3 Depth=1
	s_delay_alu instid0(SALU_CYCLE_1)
	s_or_b32 exec_lo, exec_lo, s1
	s_wait_kmcnt 0x0
	s_clause 0x1
	global_load_b64 v[38:39], v7, s[2:3] offset:40
	global_load_b128 v[26:29], v7, s[2:3]
	v_readfirstlane_b32 s4, v36
	v_readfirstlane_b32 s5, v37
	s_mov_b32 s1, exec_lo
	s_wait_loadcnt 0x1
	v_and_b32_e32 v38, s4, v38
	v_and_b32_e32 v39, s5, v39
	s_delay_alu instid0(VALU_DEP_1) | instskip(SKIP_1) | instid1(VALU_DEP_1)
	v_mul_u64_e32 v[36:37], 24, v[38:39]
	s_wait_loadcnt 0x0
	v_add_nc_u64_e32 v[36:37], v[26:27], v[36:37]
	s_wait_xcnt 0x0
	s_and_saveexec_b32 s10, s0
	s_cbranch_execz .LBB0_67
; %bb.66:                               ;   in Loop: Header=BB0_3 Depth=1
	v_mov_b32_e32 v6, s1
	global_store_b128 v[36:37], v[6:9], off offset:8
.LBB0_67:                               ;   in Loop: Header=BB0_3 Depth=1
	s_wait_xcnt 0x0
	s_or_b32 exec_lo, exec_lo, s10
	v_cmp_gt_u64_e32 vcc_lo, 57, v[4:5]
	v_lshlrev_b64_e32 v[38:39], 12, v[38:39]
	v_and_b32_e32 v6, 0xffffff1f, v10
	v_lshl_add_u32 v10, v34, 2, 28
	v_cndmask_b32_e32 v0, 0, v2, vcc_lo
	s_delay_alu instid0(VALU_DEP_4) | instskip(NEXT) | instid1(VALU_DEP_2)
	v_add_nc_u64_e32 v[28:29], v[28:29], v[38:39]
	v_dual_lshlrev_b32 v6, 6, v30 :: v_dual_bitop2_b32 v0, v6, v0 bitop3:0x54
	s_delay_alu instid0(VALU_DEP_2) | instskip(NEXT) | instid1(VALU_DEP_3)
	v_readfirstlane_b32 s10, v28
	v_readfirstlane_b32 s11, v29
	s_delay_alu instid0(VALU_DEP_3)
	v_and_or_b32 v10, 0x1e0, v10, v0
	s_clause 0x3
	global_store_b128 v6, v[10:13], s[10:11]
	global_store_b128 v6, v[14:17], s[10:11] offset:16
	global_store_b128 v6, v[18:21], s[10:11] offset:32
	;; [unrolled: 1-line block ×3, first 2 shown]
	s_wait_xcnt 0x0
	s_and_saveexec_b32 s1, s0
	s_cbranch_execz .LBB0_75
; %bb.68:                               ;   in Loop: Header=BB0_3 Depth=1
	s_clause 0x1
	global_load_b64 v[18:19], v7, s[2:3] offset:32 scope:SCOPE_SYS
	global_load_b64 v[10:11], v7, s[2:3] offset:40
	s_mov_b32 s10, exec_lo
	v_dual_mov_b32 v16, s4 :: v_dual_mov_b32 v17, s5
	s_wait_loadcnt 0x0
	v_and_b32_e32 v11, s5, v11
	v_and_b32_e32 v10, s4, v10
	s_delay_alu instid0(VALU_DEP_1) | instskip(NEXT) | instid1(VALU_DEP_1)
	v_mul_u64_e32 v[10:11], 24, v[10:11]
	v_add_nc_u64_e32 v[14:15], v[26:27], v[10:11]
	global_store_b64 v[14:15], v[18:19], off
	global_wb scope:SCOPE_SYS
	s_wait_storecnt 0x0
	s_wait_xcnt 0x0
	global_atomic_cmpswap_b64 v[12:13], v7, v[16:19], s[2:3] offset:32 th:TH_ATOMIC_RETURN scope:SCOPE_SYS
	s_wait_loadcnt 0x0
	v_cmpx_ne_u64_e64 v[12:13], v[18:19]
	s_cbranch_execz .LBB0_71
; %bb.69:                               ;   in Loop: Header=BB0_3 Depth=1
	s_mov_b32 s11, 0
.LBB0_70:                               ;   Parent Loop BB0_3 Depth=1
                                        ; =>  This Inner Loop Header: Depth=2
	v_dual_mov_b32 v10, s4 :: v_dual_mov_b32 v11, s5
	s_sleep 1
	global_store_b64 v[14:15], v[12:13], off
	global_wb scope:SCOPE_SYS
	s_wait_storecnt 0x0
	s_wait_xcnt 0x0
	global_atomic_cmpswap_b64 v[10:11], v7, v[10:13], s[2:3] offset:32 th:TH_ATOMIC_RETURN scope:SCOPE_SYS
	s_wait_loadcnt 0x0
	v_cmp_eq_u64_e32 vcc_lo, v[10:11], v[12:13]
	v_mov_b64_e32 v[12:13], v[10:11]
	s_or_b32 s11, vcc_lo, s11
	s_delay_alu instid0(SALU_CYCLE_1)
	s_and_not1_b32 exec_lo, exec_lo, s11
	s_cbranch_execnz .LBB0_70
.LBB0_71:                               ;   in Loop: Header=BB0_3 Depth=1
	s_or_b32 exec_lo, exec_lo, s10
	global_load_b64 v[10:11], v7, s[2:3] offset:16
	s_mov_b32 s11, exec_lo
	s_mov_b32 s10, exec_lo
	v_mbcnt_lo_u32_b32 v0, s11, 0
	s_wait_xcnt 0x0
	s_delay_alu instid0(VALU_DEP_1)
	v_cmpx_eq_u32_e32 0, v0
	s_cbranch_execz .LBB0_73
; %bb.72:                               ;   in Loop: Header=BB0_3 Depth=1
	s_bcnt1_i32_b32 s11, s11
	s_delay_alu instid0(SALU_CYCLE_1)
	v_dual_mov_b32 v13, v7 :: v_dual_mov_b32 v12, s11
	global_wb scope:SCOPE_SYS
	s_wait_loadcnt 0x0
	s_wait_storecnt 0x0
	global_atomic_add_u64 v[10:11], v[12:13], off offset:8 scope:SCOPE_SYS
.LBB0_73:                               ;   in Loop: Header=BB0_3 Depth=1
	s_wait_xcnt 0x0
	s_or_b32 exec_lo, exec_lo, s10
	s_wait_loadcnt 0x0
	global_load_b64 v[12:13], v[10:11], off offset:16
	s_wait_loadcnt 0x0
	v_cmp_eq_u64_e32 vcc_lo, 0, v[12:13]
	s_cbranch_vccnz .LBB0_75
; %bb.74:                               ;   in Loop: Header=BB0_3 Depth=1
	global_load_b32 v10, v[10:11], off offset:24
	s_wait_xcnt 0x0
	v_mov_b32_e32 v11, v7
	s_wait_loadcnt 0x0
	v_readfirstlane_b32 s10, v10
	global_wb scope:SCOPE_SYS
	s_wait_storecnt 0x0
	global_store_b64 v[12:13], v[10:11], off scope:SCOPE_SYS
	s_and_b32 m0, s10, 0xffffff
	s_sendmsg sendmsg(MSG_INTERRUPT)
.LBB0_75:                               ;   in Loop: Header=BB0_3 Depth=1
	s_wait_xcnt 0x0
	s_or_b32 exec_lo, exec_lo, s1
	v_add_nc_u64_e32 v[10:11], v[28:29], v[6:7]
	s_branch .LBB0_79
.LBB0_76:                               ;   in Loop: Header=BB0_79 Depth=2
	s_wait_xcnt 0x0
	s_or_b32 exec_lo, exec_lo, s1
	s_delay_alu instid0(VALU_DEP_1)
	v_readfirstlane_b32 s1, v0
	s_cmp_eq_u32 s1, 0
	s_cbranch_scc1 .LBB0_78
; %bb.77:                               ;   in Loop: Header=BB0_79 Depth=2
	s_sleep 1
	s_cbranch_execnz .LBB0_79
	s_branch .LBB0_81
.LBB0_78:                               ;   in Loop: Header=BB0_3 Depth=1
	s_branch .LBB0_81
.LBB0_79:                               ;   Parent Loop BB0_3 Depth=1
                                        ; =>  This Inner Loop Header: Depth=2
	v_mov_b32_e32 v0, 1
	s_and_saveexec_b32 s1, s0
	s_cbranch_execz .LBB0_76
; %bb.80:                               ;   in Loop: Header=BB0_79 Depth=2
	global_load_b32 v0, v[36:37], off offset:20 scope:SCOPE_SYS
	s_wait_loadcnt 0x0
	global_inv scope:SCOPE_SYS
	v_and_b32_e32 v0, 1, v0
	s_branch .LBB0_76
.LBB0_81:                               ;   in Loop: Header=BB0_3 Depth=1
	global_load_b128 v[10:13], v[10:11], off
	s_wait_xcnt 0x0
	s_and_saveexec_b32 s10, s0
	s_cbranch_execz .LBB0_2
; %bb.82:                               ;   in Loop: Header=BB0_3 Depth=1
	s_wait_loadcnt 0x0
	s_clause 0x2
	global_load_b64 v[12:13], v7, s[2:3] offset:40
	global_load_b64 v[20:21], v7, s[2:3] offset:24 scope:SCOPE_SYS
	global_load_b64 v[14:15], v7, s[2:3]
	s_wait_loadcnt 0x2
	v_readfirstlane_b32 s12, v12
	v_readfirstlane_b32 s13, v13
	s_add_nc_u64 s[0:1], s[12:13], 1
	s_delay_alu instid0(SALU_CYCLE_1) | instskip(NEXT) | instid1(SALU_CYCLE_1)
	s_add_nc_u64 s[4:5], s[0:1], s[4:5]
	s_cmp_eq_u64 s[4:5], 0
	s_cselect_b32 s1, s1, s5
	s_cselect_b32 s0, s0, s4
	s_delay_alu instid0(SALU_CYCLE_1) | instskip(SKIP_1) | instid1(SALU_CYCLE_1)
	v_dual_mov_b32 v19, s1 :: v_dual_mov_b32 v18, s0
	s_and_b64 s[4:5], s[0:1], s[12:13]
	s_mul_u64 s[4:5], s[4:5], 24
	s_wait_loadcnt 0x0
	v_add_nc_u64_e32 v[16:17], s[4:5], v[14:15]
	global_store_b64 v[16:17], v[20:21], off
	global_wb scope:SCOPE_SYS
	s_wait_storecnt 0x0
	s_wait_xcnt 0x0
	global_atomic_cmpswap_b64 v[14:15], v7, v[18:21], s[2:3] offset:24 th:TH_ATOMIC_RETURN scope:SCOPE_SYS
	s_wait_loadcnt 0x0
	v_cmp_ne_u64_e32 vcc_lo, v[14:15], v[20:21]
	s_and_b32 exec_lo, exec_lo, vcc_lo
	s_cbranch_execz .LBB0_2
; %bb.83:                               ;   in Loop: Header=BB0_3 Depth=1
	s_mov_b32 s4, 0
.LBB0_84:                               ;   Parent Loop BB0_3 Depth=1
                                        ; =>  This Inner Loop Header: Depth=2
	v_dual_mov_b32 v12, s0 :: v_dual_mov_b32 v13, s1
	s_sleep 1
	global_store_b64 v[16:17], v[14:15], off
	global_wb scope:SCOPE_SYS
	s_wait_storecnt 0x0
	s_wait_xcnt 0x0
	global_atomic_cmpswap_b64 v[12:13], v7, v[12:15], s[2:3] offset:24 th:TH_ATOMIC_RETURN scope:SCOPE_SYS
	s_wait_loadcnt 0x0
	v_cmp_eq_u64_e32 vcc_lo, v[12:13], v[14:15]
	v_mov_b64_e32 v[14:15], v[12:13]
	s_or_b32 s4, vcc_lo, s4
	s_delay_alu instid0(SALU_CYCLE_1)
	s_and_not1_b32 exec_lo, exec_lo, s4
	s_cbranch_execnz .LBB0_84
	s_branch .LBB0_2
.LBB0_85:
	s_or_b32 exec_lo, exec_lo, s7
	s_branch .LBB0_114
.LBB0_86:
	s_load_b64 s[2:3], s[8:9], 0x50
	v_readfirstlane_b32 s0, v30
	v_mov_b64_e32 v[8:9], 0
	s_delay_alu instid0(VALU_DEP_2)
	v_cmp_eq_u32_e64 s0, s0, v30
	s_and_saveexec_b32 s1, s0
	s_cbranch_execz .LBB0_92
; %bb.87:
	v_mov_b32_e32 v0, 0
	s_mov_b32 s4, exec_lo
	s_wait_kmcnt 0x0
	global_load_b64 v[6:7], v0, s[2:3] offset:24 scope:SCOPE_SYS
	s_wait_loadcnt 0x0
	global_inv scope:SCOPE_SYS
	s_clause 0x1
	global_load_b64 v[4:5], v0, s[2:3] offset:40
	global_load_b64 v[8:9], v0, s[2:3]
	s_wait_loadcnt 0x1
	v_and_b32_e32 v4, v4, v6
	v_and_b32_e32 v5, v5, v7
	s_delay_alu instid0(VALU_DEP_1) | instskip(SKIP_1) | instid1(VALU_DEP_1)
	v_mul_u64_e32 v[4:5], 24, v[4:5]
	s_wait_loadcnt 0x0
	v_add_nc_u64_e32 v[4:5], v[8:9], v[4:5]
	global_load_b64 v[4:5], v[4:5], off scope:SCOPE_SYS
	s_wait_xcnt 0x0
	s_wait_loadcnt 0x0
	global_atomic_cmpswap_b64 v[8:9], v0, v[4:7], s[2:3] offset:24 th:TH_ATOMIC_RETURN scope:SCOPE_SYS
	s_wait_loadcnt 0x0
	global_inv scope:SCOPE_SYS
	s_wait_xcnt 0x0
	v_cmpx_ne_u64_e64 v[8:9], v[6:7]
	s_cbranch_execz .LBB0_91
; %bb.88:
	s_mov_b32 s5, 0
.LBB0_89:                               ; =>This Inner Loop Header: Depth=1
	s_sleep 1
	s_clause 0x1
	global_load_b64 v[4:5], v0, s[2:3] offset:40
	global_load_b64 v[10:11], v0, s[2:3]
	v_mov_b64_e32 v[6:7], v[8:9]
	s_wait_loadcnt 0x1
	s_delay_alu instid0(VALU_DEP_1) | instskip(SKIP_1) | instid1(VALU_DEP_1)
	v_and_b32_e32 v2, v4, v6
	s_wait_loadcnt 0x0
	v_mad_nc_u64_u32 v[8:9], v2, 24, v[10:11]
	s_delay_alu instid0(VALU_DEP_3) | instskip(NEXT) | instid1(VALU_DEP_1)
	v_and_b32_e32 v2, v5, v7
	v_mad_u32 v9, v2, 24, v9
	global_load_b64 v[4:5], v[8:9], off scope:SCOPE_SYS
	s_wait_xcnt 0x0
	s_wait_loadcnt 0x0
	global_atomic_cmpswap_b64 v[8:9], v0, v[4:7], s[2:3] offset:24 th:TH_ATOMIC_RETURN scope:SCOPE_SYS
	s_wait_loadcnt 0x0
	global_inv scope:SCOPE_SYS
	v_cmp_eq_u64_e32 vcc_lo, v[8:9], v[6:7]
	s_or_b32 s5, vcc_lo, s5
	s_wait_xcnt 0x0
	s_and_not1_b32 exec_lo, exec_lo, s5
	s_cbranch_execnz .LBB0_89
; %bb.90:
	s_or_b32 exec_lo, exec_lo, s5
.LBB0_91:
	s_delay_alu instid0(SALU_CYCLE_1)
	s_or_b32 exec_lo, exec_lo, s4
.LBB0_92:
	s_delay_alu instid0(SALU_CYCLE_1)
	s_or_b32 exec_lo, exec_lo, s1
	v_readfirstlane_b32 s4, v8
	v_mov_b32_e32 v2, 0
	v_readfirstlane_b32 s5, v9
	s_mov_b32 s1, exec_lo
	s_wait_loadcnt 0x0
	s_wait_kmcnt 0x0
	s_clause 0x1
	global_load_b64 v[10:11], v2, s[2:3] offset:40
	global_load_b128 v[4:7], v2, s[2:3]
	s_wait_loadcnt 0x1
	v_and_b32_e32 v10, s4, v10
	v_and_b32_e32 v11, s5, v11
	s_delay_alu instid0(VALU_DEP_1) | instskip(SKIP_1) | instid1(VALU_DEP_1)
	v_mul_u64_e32 v[8:9], 24, v[10:11]
	s_wait_loadcnt 0x0
	v_add_nc_u64_e32 v[8:9], v[4:5], v[8:9]
	s_wait_xcnt 0x0
	s_and_saveexec_b32 s6, s0
	s_cbranch_execz .LBB0_94
; %bb.93:
	v_mov_b64_e32 v[14:15], 0x100000002
	v_dual_mov_b32 v12, s1 :: v_dual_mov_b32 v13, v2
	global_store_b128 v[8:9], v[12:15], off offset:8
.LBB0_94:
	s_wait_xcnt 0x0
	s_or_b32 exec_lo, exec_lo, s6
	v_lshlrev_b64_e32 v[10:11], 12, v[10:11]
	s_mov_b32 s8, 0
	v_and_or_b32 v0, 0xffffff1f, v3, 32
	s_mov_b32 s10, s8
	s_mov_b32 s11, s8
	;; [unrolled: 1-line block ×3, first 2 shown]
	v_dual_mov_b32 v3, v2 :: v_dual_lshlrev_b32 v14, 6, v30
	v_add_nc_u64_e32 v[6:7], v[6:7], v[10:11]
	v_mov_b64_e32 v[12:13], s[10:11]
	v_mov_b64_e32 v[10:11], s[8:9]
	s_delay_alu instid0(VALU_DEP_3) | instskip(NEXT) | instid1(VALU_DEP_4)
	v_readfirstlane_b32 s6, v6
	v_readfirstlane_b32 s7, v7
	s_clause 0x3
	global_store_b128 v14, v[0:3], s[6:7]
	global_store_b128 v14, v[10:13], s[6:7] offset:16
	global_store_b128 v14, v[10:13], s[6:7] offset:32
	;; [unrolled: 1-line block ×3, first 2 shown]
	s_wait_xcnt 0x0
	s_and_saveexec_b32 s1, s0
	s_cbranch_execz .LBB0_102
; %bb.95:
	v_dual_mov_b32 v6, 0 :: v_dual_mov_b32 v11, s5
	s_mov_b32 s6, exec_lo
	s_clause 0x1
	global_load_b64 v[12:13], v6, s[2:3] offset:32 scope:SCOPE_SYS
	global_load_b64 v[0:1], v6, s[2:3] offset:40
	s_wait_loadcnt 0x0
	v_dual_mov_b32 v10, s4 :: v_dual_bitop2_b32 v1, s5, v1 bitop3:0x40
	v_and_b32_e32 v0, s4, v0
	s_delay_alu instid0(VALU_DEP_1) | instskip(NEXT) | instid1(VALU_DEP_1)
	v_mul_u64_e32 v[0:1], 24, v[0:1]
	v_add_nc_u64_e32 v[4:5], v[4:5], v[0:1]
	global_store_b64 v[4:5], v[12:13], off
	global_wb scope:SCOPE_SYS
	s_wait_storecnt 0x0
	s_wait_xcnt 0x0
	global_atomic_cmpswap_b64 v[2:3], v6, v[10:13], s[2:3] offset:32 th:TH_ATOMIC_RETURN scope:SCOPE_SYS
	s_wait_loadcnt 0x0
	v_cmpx_ne_u64_e64 v[2:3], v[12:13]
	s_cbranch_execz .LBB0_98
; %bb.96:
	s_mov_b32 s7, 0
.LBB0_97:                               ; =>This Inner Loop Header: Depth=1
	v_dual_mov_b32 v0, s4 :: v_dual_mov_b32 v1, s5
	s_sleep 1
	global_store_b64 v[4:5], v[2:3], off
	global_wb scope:SCOPE_SYS
	s_wait_storecnt 0x0
	s_wait_xcnt 0x0
	global_atomic_cmpswap_b64 v[0:1], v6, v[0:3], s[2:3] offset:32 th:TH_ATOMIC_RETURN scope:SCOPE_SYS
	s_wait_loadcnt 0x0
	v_cmp_eq_u64_e32 vcc_lo, v[0:1], v[2:3]
	v_mov_b64_e32 v[2:3], v[0:1]
	s_or_b32 s7, vcc_lo, s7
	s_delay_alu instid0(SALU_CYCLE_1)
	s_and_not1_b32 exec_lo, exec_lo, s7
	s_cbranch_execnz .LBB0_97
.LBB0_98:
	s_or_b32 exec_lo, exec_lo, s6
	v_mov_b32_e32 v3, 0
	s_mov_b32 s7, exec_lo
	s_mov_b32 s6, exec_lo
	v_mbcnt_lo_u32_b32 v2, s7, 0
	global_load_b64 v[0:1], v3, s[2:3] offset:16
	s_wait_xcnt 0x0
	v_cmpx_eq_u32_e32 0, v2
	s_cbranch_execz .LBB0_100
; %bb.99:
	s_bcnt1_i32_b32 s7, s7
	s_delay_alu instid0(SALU_CYCLE_1)
	v_mov_b32_e32 v2, s7
	global_wb scope:SCOPE_SYS
	s_wait_loadcnt 0x0
	s_wait_storecnt 0x0
	global_atomic_add_u64 v[0:1], v[2:3], off offset:8 scope:SCOPE_SYS
.LBB0_100:
	s_wait_xcnt 0x0
	s_or_b32 exec_lo, exec_lo, s6
	s_wait_loadcnt 0x0
	global_load_b64 v[2:3], v[0:1], off offset:16
	s_wait_loadcnt 0x0
	v_cmp_eq_u64_e32 vcc_lo, 0, v[2:3]
	s_cbranch_vccnz .LBB0_102
; %bb.101:
	global_load_b32 v0, v[0:1], off offset:24
	s_wait_xcnt 0x0
	v_mov_b32_e32 v1, 0
	s_wait_loadcnt 0x0
	v_readfirstlane_b32 s6, v0
	global_wb scope:SCOPE_SYS
	s_wait_storecnt 0x0
	global_store_b64 v[2:3], v[0:1], off scope:SCOPE_SYS
	s_and_b32 m0, s6, 0xffffff
	s_sendmsg sendmsg(MSG_INTERRUPT)
.LBB0_102:
	s_wait_xcnt 0x0
	s_or_b32 exec_lo, exec_lo, s1
	s_branch .LBB0_106
.LBB0_103:                              ;   in Loop: Header=BB0_106 Depth=1
	s_wait_xcnt 0x0
	s_or_b32 exec_lo, exec_lo, s1
	s_delay_alu instid0(VALU_DEP_1)
	v_readfirstlane_b32 s1, v0
	s_cmp_eq_u32 s1, 0
	s_cbranch_scc1 .LBB0_105
; %bb.104:                              ;   in Loop: Header=BB0_106 Depth=1
	s_sleep 1
	s_cbranch_execnz .LBB0_106
	s_branch .LBB0_108
.LBB0_105:
	s_branch .LBB0_108
.LBB0_106:                              ; =>This Inner Loop Header: Depth=1
	v_mov_b32_e32 v0, 1
	s_and_saveexec_b32 s1, s0
	s_cbranch_execz .LBB0_103
; %bb.107:                              ;   in Loop: Header=BB0_106 Depth=1
	global_load_b32 v0, v[8:9], off offset:20 scope:SCOPE_SYS
	s_wait_loadcnt 0x0
	global_inv scope:SCOPE_SYS
	v_and_b32_e32 v0, 1, v0
	s_branch .LBB0_103
.LBB0_108:
	s_and_saveexec_b32 s6, s0
	s_cbranch_execz .LBB0_112
; %bb.109:
	v_mov_b32_e32 v6, 0
	s_clause 0x2
	global_load_b64 v[0:1], v6, s[2:3] offset:40
	global_load_b64 v[10:11], v6, s[2:3] offset:24 scope:SCOPE_SYS
	global_load_b64 v[2:3], v6, s[2:3]
	s_wait_loadcnt 0x2
	v_readfirstlane_b32 s8, v0
	v_readfirstlane_b32 s9, v1
	s_add_nc_u64 s[0:1], s[8:9], 1
	s_delay_alu instid0(SALU_CYCLE_1) | instskip(NEXT) | instid1(SALU_CYCLE_1)
	s_add_nc_u64 s[4:5], s[0:1], s[4:5]
	s_cmp_eq_u64 s[4:5], 0
	s_cselect_b32 s1, s1, s5
	s_cselect_b32 s0, s0, s4
	v_mov_b32_e32 v9, s1
	s_and_b64 s[4:5], s[0:1], s[8:9]
	v_mov_b32_e32 v8, s0
	s_mul_u64 s[4:5], s[4:5], 24
	s_wait_loadcnt 0x0
	v_add_nc_u64_e32 v[4:5], s[4:5], v[2:3]
	global_store_b64 v[4:5], v[10:11], off
	global_wb scope:SCOPE_SYS
	s_wait_storecnt 0x0
	s_wait_xcnt 0x0
	global_atomic_cmpswap_b64 v[2:3], v6, v[8:11], s[2:3] offset:24 th:TH_ATOMIC_RETURN scope:SCOPE_SYS
	s_wait_loadcnt 0x0
	v_cmp_ne_u64_e32 vcc_lo, v[2:3], v[10:11]
	s_and_b32 exec_lo, exec_lo, vcc_lo
	s_cbranch_execz .LBB0_112
; %bb.110:
	s_mov_b32 s4, 0
.LBB0_111:                              ; =>This Inner Loop Header: Depth=1
	v_dual_mov_b32 v0, s0 :: v_dual_mov_b32 v1, s1
	s_sleep 1
	global_store_b64 v[4:5], v[2:3], off
	global_wb scope:SCOPE_SYS
	s_wait_storecnt 0x0
	s_wait_xcnt 0x0
	global_atomic_cmpswap_b64 v[0:1], v6, v[0:3], s[2:3] offset:24 th:TH_ATOMIC_RETURN scope:SCOPE_SYS
	s_wait_loadcnt 0x0
	v_cmp_eq_u64_e32 vcc_lo, v[0:1], v[2:3]
	v_mov_b64_e32 v[2:3], v[0:1]
	s_or_b32 s4, vcc_lo, s4
	s_delay_alu instid0(SALU_CYCLE_1)
	s_and_not1_b32 exec_lo, exec_lo, s4
	s_cbranch_execnz .LBB0_111
.LBB0_112:
	s_or_b32 exec_lo, exec_lo, s6
	s_wait_loadcnt 0x0
	s_wait_kmcnt 0x0
	s_set_pc_i64 s[30:31]
.LBB0_113:
	s_cbranch_execnz .LBB0_86
.LBB0_114:
	s_wait_loadcnt 0x0
	s_wait_kmcnt 0x0
	s_set_pc_i64 s[30:31]
.Lfunc_end0:
	.size	__ockl_fprintf_append_string_n, .Lfunc_end0-__ockl_fprintf_append_string_n
                                        ; -- End function
	.set .L__ockl_fprintf_append_string_n.num_vgpr, 40
	.set .L__ockl_fprintf_append_string_n.num_agpr, 0
	.set .L__ockl_fprintf_append_string_n.numbered_sgpr, 32
	.set .L__ockl_fprintf_append_string_n.num_named_barrier, 0
	.set .L__ockl_fprintf_append_string_n.private_seg_size, 0
	.set .L__ockl_fprintf_append_string_n.uses_vcc, 1
	.set .L__ockl_fprintf_append_string_n.uses_flat_scratch, 0
	.set .L__ockl_fprintf_append_string_n.has_dyn_sized_stack, 0
	.set .L__ockl_fprintf_append_string_n.has_recursion, 0
	.set .L__ockl_fprintf_append_string_n.has_indirect_call, 0
	.section	.AMDGPU.csdata,"",@progbits
; Function info:
; codeLenInByte = 4324
; TotalNumSgprs: 34
; NumVgprs: 40
; ScratchSize: 0
; MemoryBound: 0
	.text
	.p2align	2                               ; -- Begin function __assert_fail
	.type	__assert_fail,@function
__assert_fail:                          ; @__assert_fail
; %bb.0:
	s_wait_loadcnt_dscnt 0x0
	s_wait_kmcnt 0x0
	s_mov_b32 s20, s33
	s_mov_b32 s33, s32
	s_or_saveexec_b32 s0, -1
	scratch_store_b32 off, v40, s33 offset:48 ; 4-byte Folded Spill
	s_wait_xcnt 0x0
	s_mov_b32 exec_lo, s0
	v_writelane_b32 v40, s30, 0
	s_add_co_i32 s32, s32, 64
	v_writelane_b32 v40, s31, 1
	v_mov_b32_e32 v8, 0
	s_get_pc_i64 s[0:1]
	s_add_nc_u64 s[0:1], s[0:1], __const.__assert_fail.fmt@rel64+35
	v_dual_mov_b32 v5, v1 :: v_dual_mov_b32 v4, v0
	s_get_pc_i64 s[10:11]
	s_add_nc_u64 s[10:11], s[10:11], __const.__assert_fail.fmt@rel64+20
	global_load_b128 v[0:3], v8, s[0:1]
	s_wait_xcnt 0x0
	s_get_pc_i64 s[0:1]
	s_add_nc_u64 s[0:1], s[0:1], __const.__assert_fail.fmt@rel64+4
	s_clause 0x1
	s_load_b128 s[4:7], s[0:1], 0x0
	s_load_b128 s[12:15], s[10:11], 0x0
	s_load_b64 s[2:3], s[8:9], 0x50
	v_mbcnt_lo_u32_b32 v48, -1, 0
	v_mov_b64_e32 v[6:7], 0
	s_wait_xcnt 0x0
	s_delay_alu instid0(VALU_DEP_2) | instskip(NEXT) | instid1(VALU_DEP_1)
	v_readfirstlane_b32 s0, v48
	v_cmp_eq_u32_e64 s0, s0, v48
	s_wait_kmcnt 0x0
	v_mov_b64_e32 v[12:13], s[6:7]
	v_mov_b64_e32 v[10:11], s[4:5]
	;; [unrolled: 1-line block ×4, first 2 shown]
	s_clause 0x1
	scratch_store_b128 off, v[10:13], s33
	scratch_store_b128 off, v[14:17], s33 offset:16
	s_wait_loadcnt 0x0
	scratch_store_b128 off, v[0:3], s33 offset:31
	s_wait_xcnt 0x0
	s_and_saveexec_b32 s1, s0
	s_cbranch_execz .LBB1_6
; %bb.1:
	global_load_b64 v[2:3], v8, s[2:3] offset:24 scope:SCOPE_SYS
	s_wait_loadcnt 0x0
	global_inv scope:SCOPE_SYS
	s_clause 0x1
	global_load_b64 v[0:1], v8, s[2:3] offset:40
	global_load_b64 v[6:7], v8, s[2:3]
	s_mov_b32 s4, exec_lo
	s_wait_loadcnt 0x1
	v_and_b32_e32 v0, v0, v2
	v_and_b32_e32 v1, v1, v3
	s_delay_alu instid0(VALU_DEP_1) | instskip(SKIP_1) | instid1(VALU_DEP_1)
	v_mul_u64_e32 v[0:1], 24, v[0:1]
	s_wait_loadcnt 0x0
	v_add_nc_u64_e32 v[0:1], v[6:7], v[0:1]
	global_load_b64 v[0:1], v[0:1], off scope:SCOPE_SYS
	s_wait_xcnt 0x0
	s_wait_loadcnt 0x0
	global_atomic_cmpswap_b64 v[6:7], v8, v[0:3], s[2:3] offset:24 th:TH_ATOMIC_RETURN scope:SCOPE_SYS
	s_wait_loadcnt 0x0
	global_inv scope:SCOPE_SYS
	s_wait_xcnt 0x0
	v_cmpx_ne_u64_e64 v[6:7], v[2:3]
	s_cbranch_execz .LBB1_5
; %bb.2:
	v_mov_b32_e32 v0, 0
	s_mov_b32 s5, 0
.LBB1_3:                                ; =>This Inner Loop Header: Depth=1
	s_sleep 1
	s_clause 0x1
	global_load_b64 v[2:3], v0, s[2:3] offset:40
	global_load_b64 v[10:11], v0, s[2:3]
	v_mov_b64_e32 v[12:13], v[6:7]
	s_wait_loadcnt 0x1
	s_delay_alu instid0(VALU_DEP_1) | instskip(SKIP_1) | instid1(VALU_DEP_1)
	v_and_b32_e32 v1, v2, v12
	s_wait_loadcnt 0x0
	v_mad_nc_u64_u32 v[6:7], v1, 24, v[10:11]
	s_delay_alu instid0(VALU_DEP_3) | instskip(NEXT) | instid1(VALU_DEP_1)
	v_and_b32_e32 v1, v3, v13
	v_mad_u32 v7, v1, 24, v7
	global_load_b64 v[10:11], v[6:7], off scope:SCOPE_SYS
	s_wait_xcnt 0x0
	s_wait_loadcnt 0x0
	global_atomic_cmpswap_b64 v[6:7], v0, v[10:13], s[2:3] offset:24 th:TH_ATOMIC_RETURN scope:SCOPE_SYS
	s_wait_loadcnt 0x0
	global_inv scope:SCOPE_SYS
	v_cmp_eq_u64_e32 vcc_lo, v[6:7], v[12:13]
	s_or_b32 s5, vcc_lo, s5
	s_wait_xcnt 0x0
	s_and_not1_b32 exec_lo, exec_lo, s5
	s_cbranch_execnz .LBB1_3
; %bb.4:
	s_or_b32 exec_lo, exec_lo, s5
.LBB1_5:
	s_delay_alu instid0(SALU_CYCLE_1)
	s_or_b32 exec_lo, exec_lo, s4
.LBB1_6:
	s_delay_alu instid0(SALU_CYCLE_1)
	s_or_b32 exec_lo, exec_lo, s1
	s_clause 0x1
	global_load_b64 v[10:11], v8, s[2:3] offset:40
	global_load_b128 v[0:3], v8, s[2:3]
	v_readfirstlane_b32 s4, v6
	v_readfirstlane_b32 s5, v7
	s_mov_b32 s1, exec_lo
	s_wait_loadcnt 0x1
	s_wait_xcnt 0x0
	v_and_b32_e32 v8, s4, v10
	v_and_b32_e32 v9, s5, v11
	s_delay_alu instid0(VALU_DEP_1) | instskip(SKIP_1) | instid1(VALU_DEP_1)
	v_mul_u64_e32 v[6:7], 24, v[8:9]
	s_wait_loadcnt 0x0
	v_add_nc_u64_e32 v[6:7], v[0:1], v[6:7]
	s_and_saveexec_b32 s6, s0
	s_cbranch_execz .LBB1_8
; %bb.7:
	v_mov_b64_e32 v[12:13], 0x100000002
	v_dual_mov_b32 v10, s1 :: v_dual_mov_b32 v11, 0
	global_store_b128 v[6:7], v[10:13], off offset:8
.LBB1_8:
	s_wait_xcnt 0x0
	s_or_b32 exec_lo, exec_lo, s6
	v_lshlrev_b64_e32 v[8:9], 12, v[8:9]
	s_mov_b32 s12, 0
	v_dual_mov_b32 v31, 0 :: v_dual_lshlrev_b32 v30, 6, v48
	s_mov_b32 s14, s12
	s_mov_b32 s15, s12
	;; [unrolled: 1-line block ×3, first 2 shown]
	s_delay_alu instid0(VALU_DEP_2)
	v_add_nc_u64_e32 v[8:9], v[2:3], v[8:9]
	v_mov_b64_e32 v[16:17], s[14:15]
	v_mov_b64_e32 v[14:15], s[12:13]
	v_dual_mov_b32 v10, 33 :: v_dual_mov_b32 v12, 1
	v_dual_mov_b32 v11, v31 :: v_dual_mov_b32 v13, v31
	v_readfirstlane_b32 s6, v8
	v_readfirstlane_b32 s7, v9
	s_clause 0x3
	global_store_b128 v30, v[10:13], s[6:7]
	global_store_b128 v30, v[14:17], s[6:7] offset:16
	global_store_b128 v30, v[14:17], s[6:7] offset:32
	;; [unrolled: 1-line block ×3, first 2 shown]
	s_wait_xcnt 0x0
	s_and_saveexec_b32 s1, s0
	s_cbranch_execz .LBB1_16
; %bb.9:
	s_clause 0x1
	global_load_b64 v[14:15], v31, s[2:3] offset:32 scope:SCOPE_SYS
	global_load_b64 v[2:3], v31, s[2:3] offset:40
	s_mov_b32 s6, exec_lo
	v_dual_mov_b32 v12, s4 :: v_dual_mov_b32 v13, s5
	s_wait_loadcnt 0x0
	v_and_b32_e32 v3, s5, v3
	v_and_b32_e32 v2, s4, v2
	s_delay_alu instid0(VALU_DEP_1) | instskip(NEXT) | instid1(VALU_DEP_1)
	v_mul_u64_e32 v[2:3], 24, v[2:3]
	v_add_nc_u64_e32 v[10:11], v[0:1], v[2:3]
	global_store_b64 v[10:11], v[14:15], off
	global_wb scope:SCOPE_SYS
	s_wait_storecnt 0x0
	s_wait_xcnt 0x0
	global_atomic_cmpswap_b64 v[2:3], v31, v[12:15], s[2:3] offset:32 th:TH_ATOMIC_RETURN scope:SCOPE_SYS
	s_wait_loadcnt 0x0
	v_cmpx_ne_u64_e64 v[2:3], v[14:15]
	s_cbranch_execz .LBB1_12
; %bb.10:
	v_mov_b32_e32 v12, 0
	s_mov_b32 s7, 0
.LBB1_11:                               ; =>This Inner Loop Header: Depth=1
	v_dual_mov_b32 v0, s4 :: v_dual_mov_b32 v1, s5
	s_sleep 1
	global_store_b64 v[10:11], v[2:3], off
	global_wb scope:SCOPE_SYS
	s_wait_storecnt 0x0
	s_wait_xcnt 0x0
	global_atomic_cmpswap_b64 v[0:1], v12, v[0:3], s[2:3] offset:32 th:TH_ATOMIC_RETURN scope:SCOPE_SYS
	s_wait_loadcnt 0x0
	v_cmp_eq_u64_e32 vcc_lo, v[0:1], v[2:3]
	v_mov_b64_e32 v[2:3], v[0:1]
	s_or_b32 s7, vcc_lo, s7
	s_delay_alu instid0(SALU_CYCLE_1)
	s_and_not1_b32 exec_lo, exec_lo, s7
	s_cbranch_execnz .LBB1_11
.LBB1_12:
	s_or_b32 exec_lo, exec_lo, s6
	v_mov_b32_e32 v3, 0
	s_mov_b32 s7, exec_lo
	s_mov_b32 s6, exec_lo
	v_mbcnt_lo_u32_b32 v2, s7, 0
	global_load_b64 v[0:1], v3, s[2:3] offset:16
	s_wait_xcnt 0x0
	v_cmpx_eq_u32_e32 0, v2
	s_cbranch_execz .LBB1_14
; %bb.13:
	s_bcnt1_i32_b32 s7, s7
	s_delay_alu instid0(SALU_CYCLE_1)
	v_mov_b32_e32 v2, s7
	global_wb scope:SCOPE_SYS
	s_wait_loadcnt 0x0
	s_wait_storecnt 0x0
	global_atomic_add_u64 v[0:1], v[2:3], off offset:8 scope:SCOPE_SYS
.LBB1_14:
	s_wait_xcnt 0x0
	s_or_b32 exec_lo, exec_lo, s6
	s_wait_loadcnt 0x0
	global_load_b64 v[2:3], v[0:1], off offset:16
	s_wait_loadcnt 0x0
	v_cmp_eq_u64_e32 vcc_lo, 0, v[2:3]
	s_cbranch_vccnz .LBB1_16
; %bb.15:
	global_load_b32 v0, v[0:1], off offset:24
	s_wait_xcnt 0x0
	v_mov_b32_e32 v1, 0
	s_wait_loadcnt 0x0
	v_readfirstlane_b32 s6, v0
	global_wb scope:SCOPE_SYS
	s_wait_storecnt 0x0
	global_store_b64 v[2:3], v[0:1], off scope:SCOPE_SYS
	s_and_b32 m0, s6, 0xffffff
	s_sendmsg sendmsg(MSG_INTERRUPT)
.LBB1_16:
	s_wait_xcnt 0x0
	s_or_b32 exec_lo, exec_lo, s1
	v_add_nc_u64_e32 v[0:1], v[8:9], v[30:31]
	s_branch .LBB1_20
.LBB1_17:                               ;   in Loop: Header=BB1_20 Depth=1
	s_wait_xcnt 0x0
	s_or_b32 exec_lo, exec_lo, s1
	s_delay_alu instid0(VALU_DEP_1)
	v_readfirstlane_b32 s1, v2
	s_cmp_eq_u32 s1, 0
	s_cbranch_scc1 .LBB1_19
; %bb.18:                               ;   in Loop: Header=BB1_20 Depth=1
	s_sleep 1
	s_cbranch_execnz .LBB1_20
	s_branch .LBB1_22
.LBB1_19:
	s_branch .LBB1_22
.LBB1_20:                               ; =>This Inner Loop Header: Depth=1
	v_mov_b32_e32 v2, 1
	s_and_saveexec_b32 s1, s0
	s_cbranch_execz .LBB1_17
; %bb.21:                               ;   in Loop: Header=BB1_20 Depth=1
	global_load_b32 v2, v[6:7], off offset:20 scope:SCOPE_SYS
	s_wait_loadcnt 0x0
	global_inv scope:SCOPE_SYS
	v_and_b32_e32 v2, 1, v2
	s_branch .LBB1_17
.LBB1_22:
	global_load_b64 v[6:7], v[0:1], off
	s_wait_xcnt 0x0
	s_and_saveexec_b32 s6, s0
	s_cbranch_execz .LBB1_26
; %bb.23:
	v_mov_b32_e32 v10, 0
	s_clause 0x2
	global_load_b64 v[0:1], v10, s[2:3] offset:40
	global_load_b64 v[14:15], v10, s[2:3] offset:24 scope:SCOPE_SYS
	global_load_b64 v[2:3], v10, s[2:3]
	s_wait_loadcnt 0x2
	v_readfirstlane_b32 s10, v0
	v_readfirstlane_b32 s11, v1
	s_add_nc_u64 s[0:1], s[10:11], 1
	s_delay_alu instid0(SALU_CYCLE_1) | instskip(NEXT) | instid1(SALU_CYCLE_1)
	s_add_nc_u64 s[4:5], s[0:1], s[4:5]
	s_cmp_eq_u64 s[4:5], 0
	s_cselect_b32 s1, s1, s5
	s_cselect_b32 s0, s0, s4
	v_mov_b32_e32 v13, s1
	s_and_b64 s[4:5], s[0:1], s[10:11]
	v_mov_b32_e32 v12, s0
	s_mul_u64 s[4:5], s[4:5], 24
	s_wait_loadcnt 0x0
	v_add_nc_u64_e32 v[8:9], s[4:5], v[2:3]
	global_store_b64 v[8:9], v[14:15], off
	global_wb scope:SCOPE_SYS
	s_wait_storecnt 0x0
	s_wait_xcnt 0x0
	global_atomic_cmpswap_b64 v[2:3], v10, v[12:15], s[2:3] offset:24 th:TH_ATOMIC_RETURN scope:SCOPE_SYS
	s_wait_loadcnt 0x0
	v_cmp_ne_u64_e32 vcc_lo, v[2:3], v[14:15]
	s_and_b32 exec_lo, exec_lo, vcc_lo
	s_cbranch_execz .LBB1_26
; %bb.24:
	s_mov_b32 s4, 0
.LBB1_25:                               ; =>This Inner Loop Header: Depth=1
	v_dual_mov_b32 v0, s0 :: v_dual_mov_b32 v1, s1
	s_sleep 1
	global_store_b64 v[8:9], v[2:3], off
	global_wb scope:SCOPE_SYS
	s_wait_storecnt 0x0
	s_wait_xcnt 0x0
	global_atomic_cmpswap_b64 v[0:1], v10, v[0:3], s[2:3] offset:24 th:TH_ATOMIC_RETURN scope:SCOPE_SYS
	s_wait_loadcnt 0x0
	v_cmp_eq_u64_e32 vcc_lo, v[0:1], v[2:3]
	v_mov_b64_e32 v[2:3], v[0:1]
	s_or_b32 s4, vcc_lo, s4
	s_delay_alu instid0(SALU_CYCLE_1)
	s_and_not1_b32 exec_lo, exec_lo, s4
	s_cbranch_execnz .LBB1_25
.LBB1_26:
	s_or_b32 exec_lo, exec_lo, s6
	s_mov_b32 s1, s33
	s_mov_b32 s0, 0
.LBB1_27:                               ; =>This Inner Loop Header: Depth=1
	scratch_load_u8 v0, off, s1
	s_wait_xcnt 0x0
	s_add_co_i32 s1, s1, 1
	s_wait_loadcnt 0x0
	v_cmp_eq_u16_e32 vcc_lo, 0, v0
	v_mov_b32_e32 v0, s1
	s_or_b32 s0, vcc_lo, s0
	s_delay_alu instid0(SALU_CYCLE_1)
	s_and_not1_b32 exec_lo, exec_lo, s0
	s_cbranch_execnz .LBB1_27
; %bb.28:
	s_or_b32 exec_lo, exec_lo, s0
	s_cmp_lg_u32 s33, -1
	s_cbranch_scc0 .LBB1_113
; %bb.29:
	s_mov_b64 s[0:1], src_flat_scratch_base_lo
	v_mov_b64_e32 v[10:11], 0x100000002
	v_dual_add_nc_u32 v0, s0, v0 :: v_dual_bitop2_b32 v28, 2, v6 bitop3:0x40
	s_add_co_i32 s0, s33, s0
	v_dual_mov_b32 v31, 0 :: v_dual_mov_b32 v29, s33
	s_delay_alu instid0(VALU_DEP_2) | instskip(SKIP_3) | instid1(VALU_DEP_2)
	v_subrev_nc_u32_e32 v32, s0, v0
	v_dual_mov_b32 v1, v7 :: v_dual_bitop2_b32 v0, -3, v6 bitop3:0x40
	s_mov_b32 s7, 0
	s_mov_b32 s6, 0
	v_ashrrev_i32_e32 v33, 31, v32
	s_branch .LBB1_31
.LBB1_30:                               ;   in Loop: Header=BB1_31 Depth=1
	s_or_b32 exec_lo, exec_lo, s10
	v_sub_nc_u64_e32 v[32:33], v[32:33], v[34:35]
	v_add_nc_u32_e32 v29, v29, v34
	s_delay_alu instid0(VALU_DEP_2) | instskip(SKIP_1) | instid1(SALU_CYCLE_1)
	v_cmp_eq_u64_e32 vcc_lo, 0, v[32:33]
	s_or_b32 s6, vcc_lo, s6
	s_and_not1_b32 exec_lo, exec_lo, s6
	s_cbranch_execz .LBB1_192
.LBB1_31:                               ; =>This Loop Header: Depth=1
                                        ;     Child Loop BB1_34 Depth 2
                                        ;     Child Loop BB1_42 Depth 2
	;; [unrolled: 1-line block ×11, first 2 shown]
	s_delay_alu instid0(VALU_DEP_1)
	v_min_u64 v[34:35], v[32:33], 56
	v_add_nc_u32_e32 v9, 8, v29
	s_mov_b32 s0, exec_lo
	v_cmpx_gt_u64_e32 8, v[32:33]
	s_xor_b32 s4, exec_lo, s0
	s_cbranch_execz .LBB1_37
; %bb.32:                               ;   in Loop: Header=BB1_31 Depth=1
	v_mov_b64_e32 v[2:3], 0
	s_mov_b32 s5, exec_lo
	v_cmpx_ne_u64_e32 0, v[32:33]
	s_cbranch_execz .LBB1_36
; %bb.33:                               ;   in Loop: Header=BB1_31 Depth=1
	v_mov_b64_e32 v[2:3], 0
	v_dual_mov_b32 v9, v29 :: v_dual_lshlrev_b32 v8, 3, v34
	s_mov_b64 s[0:1], 0
	s_mov_b32 s10, 0
.LBB1_34:                               ;   Parent Loop BB1_31 Depth=1
                                        ; =>  This Inner Loop Header: Depth=2
	scratch_load_u8 v12, v9, off
	s_wait_xcnt 0x0
	v_dual_mov_b32 v13, s7 :: v_dual_add_nc_u32 v9, 1, v9
	s_wait_loadcnt 0x0
	v_and_b32_e32 v12, 0xffff, v12
	s_delay_alu instid0(VALU_DEP_1) | instskip(SKIP_1) | instid1(SALU_CYCLE_1)
	v_lshlrev_b64_e32 v[12:13], s0, v[12:13]
	s_add_nc_u64 s[0:1], s[0:1], 8
	v_cmp_eq_u32_e32 vcc_lo, s0, v8
	s_delay_alu instid0(VALU_DEP_2) | instskip(NEXT) | instid1(VALU_DEP_3)
	v_or_b32_e32 v3, v13, v3
	v_or_b32_e32 v2, v12, v2
	s_or_b32 s10, vcc_lo, s10
	s_delay_alu instid0(SALU_CYCLE_1)
	s_and_not1_b32 exec_lo, exec_lo, s10
	s_cbranch_execnz .LBB1_34
; %bb.35:                               ;   in Loop: Header=BB1_31 Depth=1
	s_or_b32 exec_lo, exec_lo, s10
.LBB1_36:                               ;   in Loop: Header=BB1_31 Depth=1
	s_delay_alu instid0(SALU_CYCLE_1)
	s_or_b32 exec_lo, exec_lo, s5
	v_mov_b32_e32 v9, v29
.LBB1_37:                               ;   in Loop: Header=BB1_31 Depth=1
	s_or_saveexec_b32 s0, s4
	v_mov_b32_e32 v14, 0
	s_xor_b32 exec_lo, exec_lo, s0
	s_cbranch_execz .LBB1_39
; %bb.38:                               ;   in Loop: Header=BB1_31 Depth=1
	scratch_load_b64 v[2:3], v29, off
	v_add_nc_u32_e32 v14, -8, v34
.LBB1_39:                               ;   in Loop: Header=BB1_31 Depth=1
	s_wait_xcnt 0x0
	s_or_b32 exec_lo, exec_lo, s0
	v_add_nc_u32_e32 v8, 8, v9
                                        ; implicit-def: $vgpr12_vgpr13
	s_mov_b32 s0, exec_lo
	v_cmpx_gt_u32_e32 8, v14
	s_xor_b32 s4, exec_lo, s0
	s_cbranch_execz .LBB1_45
; %bb.40:                               ;   in Loop: Header=BB1_31 Depth=1
	v_mov_b64_e32 v[12:13], 0
	s_mov_b32 s5, exec_lo
	v_cmpx_ne_u32_e32 0, v14
	s_cbranch_execz .LBB1_44
; %bb.41:                               ;   in Loop: Header=BB1_31 Depth=1
	v_mov_b64_e32 v[12:13], 0
	s_mov_b64 s[0:1], 0
	s_mov_b32 s10, 0
	s_mov_b32 s11, 0
.LBB1_42:                               ;   Parent Loop BB1_31 Depth=1
                                        ; =>  This Inner Loop Header: Depth=2
	scratch_load_u8 v8, v9, s11
	v_mov_b32_e32 v17, s7
	s_wait_xcnt 0x0
	s_add_co_i32 s11, s11, 1
	s_delay_alu instid0(SALU_CYCLE_1) | instskip(SKIP_3) | instid1(VALU_DEP_1)
	v_cmp_eq_u32_e32 vcc_lo, s11, v14
	s_or_b32 s10, vcc_lo, s10
	s_wait_loadcnt 0x0
	v_and_b32_e32 v16, 0xffff, v8
	v_lshlrev_b64_e32 v[16:17], s0, v[16:17]
	s_add_nc_u64 s[0:1], s[0:1], 8
	s_delay_alu instid0(VALU_DEP_1) | instskip(NEXT) | instid1(VALU_DEP_2)
	v_or_b32_e32 v13, v17, v13
	v_or_b32_e32 v12, v16, v12
	s_and_not1_b32 exec_lo, exec_lo, s10
	s_cbranch_execnz .LBB1_42
; %bb.43:                               ;   in Loop: Header=BB1_31 Depth=1
	s_or_b32 exec_lo, exec_lo, s10
.LBB1_44:                               ;   in Loop: Header=BB1_31 Depth=1
	s_delay_alu instid0(SALU_CYCLE_1)
	s_or_b32 exec_lo, exec_lo, s5
	v_mov_b32_e32 v8, v9
                                        ; implicit-def: $vgpr14
.LBB1_45:                               ;   in Loop: Header=BB1_31 Depth=1
	s_or_saveexec_b32 s0, s4
	v_mov_b32_e32 v16, 0
	s_xor_b32 exec_lo, exec_lo, s0
	s_cbranch_execz .LBB1_47
; %bb.46:                               ;   in Loop: Header=BB1_31 Depth=1
	scratch_load_b64 v[12:13], v9, off
	v_add_nc_u32_e32 v16, -8, v14
.LBB1_47:                               ;   in Loop: Header=BB1_31 Depth=1
	s_wait_xcnt 0x0
	s_or_b32 exec_lo, exec_lo, s0
	v_add_nc_u32_e32 v9, 8, v8
	s_mov_b32 s0, exec_lo
	v_cmpx_gt_u32_e32 8, v16
	s_xor_b32 s4, exec_lo, s0
	s_cbranch_execz .LBB1_53
; %bb.48:                               ;   in Loop: Header=BB1_31 Depth=1
	v_mov_b64_e32 v[14:15], 0
	s_mov_b32 s5, exec_lo
	v_cmpx_ne_u32_e32 0, v16
	s_cbranch_execz .LBB1_52
; %bb.49:                               ;   in Loop: Header=BB1_31 Depth=1
	v_mov_b64_e32 v[14:15], 0
	s_mov_b64 s[0:1], 0
	s_mov_b32 s10, 0
	s_mov_b32 s11, 0
.LBB1_50:                               ;   Parent Loop BB1_31 Depth=1
                                        ; =>  This Inner Loop Header: Depth=2
	scratch_load_u8 v9, v8, s11
	v_mov_b32_e32 v19, s7
	s_wait_xcnt 0x0
	s_add_co_i32 s11, s11, 1
	s_delay_alu instid0(SALU_CYCLE_1) | instskip(SKIP_3) | instid1(VALU_DEP_1)
	v_cmp_eq_u32_e32 vcc_lo, s11, v16
	s_or_b32 s10, vcc_lo, s10
	s_wait_loadcnt 0x0
	v_and_b32_e32 v18, 0xffff, v9
	v_lshlrev_b64_e32 v[18:19], s0, v[18:19]
	s_add_nc_u64 s[0:1], s[0:1], 8
	s_delay_alu instid0(VALU_DEP_1) | instskip(NEXT) | instid1(VALU_DEP_2)
	v_or_b32_e32 v15, v19, v15
	v_or_b32_e32 v14, v18, v14
	s_and_not1_b32 exec_lo, exec_lo, s10
	s_cbranch_execnz .LBB1_50
; %bb.51:                               ;   in Loop: Header=BB1_31 Depth=1
	s_or_b32 exec_lo, exec_lo, s10
.LBB1_52:                               ;   in Loop: Header=BB1_31 Depth=1
	s_delay_alu instid0(SALU_CYCLE_1)
	s_or_b32 exec_lo, exec_lo, s5
	v_mov_b32_e32 v9, v8
                                        ; implicit-def: $vgpr16
.LBB1_53:                               ;   in Loop: Header=BB1_31 Depth=1
	s_or_saveexec_b32 s0, s4
	v_mov_b32_e32 v18, 0
	s_xor_b32 exec_lo, exec_lo, s0
	s_cbranch_execz .LBB1_55
; %bb.54:                               ;   in Loop: Header=BB1_31 Depth=1
	scratch_load_b64 v[14:15], v8, off
	v_add_nc_u32_e32 v18, -8, v16
.LBB1_55:                               ;   in Loop: Header=BB1_31 Depth=1
	s_wait_xcnt 0x0
	s_or_b32 exec_lo, exec_lo, s0
	v_add_nc_u32_e32 v8, 8, v9
                                        ; implicit-def: $vgpr16_vgpr17
	s_mov_b32 s0, exec_lo
	v_cmpx_gt_u32_e32 8, v18
	s_xor_b32 s4, exec_lo, s0
	s_cbranch_execz .LBB1_61
; %bb.56:                               ;   in Loop: Header=BB1_31 Depth=1
	v_mov_b64_e32 v[16:17], 0
	s_mov_b32 s5, exec_lo
	v_cmpx_ne_u32_e32 0, v18
	s_cbranch_execz .LBB1_60
; %bb.57:                               ;   in Loop: Header=BB1_31 Depth=1
	v_mov_b64_e32 v[16:17], 0
	s_mov_b64 s[0:1], 0
	s_mov_b32 s10, 0
	s_mov_b32 s11, 0
.LBB1_58:                               ;   Parent Loop BB1_31 Depth=1
                                        ; =>  This Inner Loop Header: Depth=2
	scratch_load_u8 v8, v9, s11
	v_mov_b32_e32 v21, s7
	s_wait_xcnt 0x0
	s_add_co_i32 s11, s11, 1
	s_delay_alu instid0(SALU_CYCLE_1) | instskip(SKIP_3) | instid1(VALU_DEP_1)
	v_cmp_eq_u32_e32 vcc_lo, s11, v18
	s_or_b32 s10, vcc_lo, s10
	s_wait_loadcnt 0x0
	v_and_b32_e32 v20, 0xffff, v8
	v_lshlrev_b64_e32 v[20:21], s0, v[20:21]
	s_add_nc_u64 s[0:1], s[0:1], 8
	s_delay_alu instid0(VALU_DEP_1) | instskip(NEXT) | instid1(VALU_DEP_2)
	v_or_b32_e32 v17, v21, v17
	v_or_b32_e32 v16, v20, v16
	s_and_not1_b32 exec_lo, exec_lo, s10
	s_cbranch_execnz .LBB1_58
; %bb.59:                               ;   in Loop: Header=BB1_31 Depth=1
	s_or_b32 exec_lo, exec_lo, s10
.LBB1_60:                               ;   in Loop: Header=BB1_31 Depth=1
	s_delay_alu instid0(SALU_CYCLE_1)
	s_or_b32 exec_lo, exec_lo, s5
	v_mov_b32_e32 v8, v9
                                        ; implicit-def: $vgpr18
.LBB1_61:                               ;   in Loop: Header=BB1_31 Depth=1
	s_or_saveexec_b32 s0, s4
	v_mov_b32_e32 v20, 0
	s_xor_b32 exec_lo, exec_lo, s0
	s_cbranch_execz .LBB1_63
; %bb.62:                               ;   in Loop: Header=BB1_31 Depth=1
	scratch_load_b64 v[16:17], v9, off
	v_add_nc_u32_e32 v20, -8, v18
.LBB1_63:                               ;   in Loop: Header=BB1_31 Depth=1
	s_wait_xcnt 0x0
	s_or_b32 exec_lo, exec_lo, s0
	v_add_nc_u32_e32 v9, 8, v8
	s_mov_b32 s0, exec_lo
	v_cmpx_gt_u32_e32 8, v20
	s_xor_b32 s4, exec_lo, s0
	s_cbranch_execz .LBB1_69
; %bb.64:                               ;   in Loop: Header=BB1_31 Depth=1
	v_mov_b64_e32 v[18:19], 0
	s_mov_b32 s5, exec_lo
	v_cmpx_ne_u32_e32 0, v20
	s_cbranch_execz .LBB1_68
; %bb.65:                               ;   in Loop: Header=BB1_31 Depth=1
	v_mov_b64_e32 v[18:19], 0
	s_mov_b64 s[0:1], 0
	s_mov_b32 s10, 0
	s_mov_b32 s11, 0
.LBB1_66:                               ;   Parent Loop BB1_31 Depth=1
                                        ; =>  This Inner Loop Header: Depth=2
	scratch_load_u8 v9, v8, s11
	v_mov_b32_e32 v23, s7
	s_wait_xcnt 0x0
	s_add_co_i32 s11, s11, 1
	s_delay_alu instid0(SALU_CYCLE_1) | instskip(SKIP_3) | instid1(VALU_DEP_1)
	v_cmp_eq_u32_e32 vcc_lo, s11, v20
	s_or_b32 s10, vcc_lo, s10
	s_wait_loadcnt 0x0
	v_and_b32_e32 v22, 0xffff, v9
	v_lshlrev_b64_e32 v[22:23], s0, v[22:23]
	s_add_nc_u64 s[0:1], s[0:1], 8
	s_delay_alu instid0(VALU_DEP_1) | instskip(NEXT) | instid1(VALU_DEP_2)
	v_or_b32_e32 v19, v23, v19
	v_or_b32_e32 v18, v22, v18
	s_and_not1_b32 exec_lo, exec_lo, s10
	s_cbranch_execnz .LBB1_66
; %bb.67:                               ;   in Loop: Header=BB1_31 Depth=1
	s_or_b32 exec_lo, exec_lo, s10
.LBB1_68:                               ;   in Loop: Header=BB1_31 Depth=1
	s_delay_alu instid0(SALU_CYCLE_1)
	s_or_b32 exec_lo, exec_lo, s5
	v_mov_b32_e32 v9, v8
                                        ; implicit-def: $vgpr20
.LBB1_69:                               ;   in Loop: Header=BB1_31 Depth=1
	s_or_saveexec_b32 s0, s4
	v_mov_b32_e32 v22, 0
	s_xor_b32 exec_lo, exec_lo, s0
	s_cbranch_execz .LBB1_71
; %bb.70:                               ;   in Loop: Header=BB1_31 Depth=1
	scratch_load_b64 v[18:19], v8, off
	v_add_nc_u32_e32 v22, -8, v20
.LBB1_71:                               ;   in Loop: Header=BB1_31 Depth=1
	s_wait_xcnt 0x0
	s_or_b32 exec_lo, exec_lo, s0
	v_add_nc_u32_e32 v8, 8, v9
                                        ; implicit-def: $vgpr20_vgpr21
	s_mov_b32 s0, exec_lo
	v_cmpx_gt_u32_e32 8, v22
	s_xor_b32 s4, exec_lo, s0
	s_cbranch_execz .LBB1_77
; %bb.72:                               ;   in Loop: Header=BB1_31 Depth=1
	v_mov_b64_e32 v[20:21], 0
	s_mov_b32 s5, exec_lo
	v_cmpx_ne_u32_e32 0, v22
	s_cbranch_execz .LBB1_76
; %bb.73:                               ;   in Loop: Header=BB1_31 Depth=1
	v_mov_b64_e32 v[20:21], 0
	s_mov_b64 s[0:1], 0
	s_mov_b32 s10, 0
	s_mov_b32 s11, 0
.LBB1_74:                               ;   Parent Loop BB1_31 Depth=1
                                        ; =>  This Inner Loop Header: Depth=2
	scratch_load_u8 v8, v9, s11
	v_mov_b32_e32 v25, s7
	s_wait_xcnt 0x0
	s_add_co_i32 s11, s11, 1
	s_delay_alu instid0(SALU_CYCLE_1) | instskip(SKIP_3) | instid1(VALU_DEP_1)
	v_cmp_eq_u32_e32 vcc_lo, s11, v22
	s_or_b32 s10, vcc_lo, s10
	s_wait_loadcnt 0x0
	v_and_b32_e32 v24, 0xffff, v8
	v_lshlrev_b64_e32 v[24:25], s0, v[24:25]
	s_add_nc_u64 s[0:1], s[0:1], 8
	s_delay_alu instid0(VALU_DEP_1) | instskip(NEXT) | instid1(VALU_DEP_2)
	v_or_b32_e32 v21, v25, v21
	v_or_b32_e32 v20, v24, v20
	s_and_not1_b32 exec_lo, exec_lo, s10
	s_cbranch_execnz .LBB1_74
; %bb.75:                               ;   in Loop: Header=BB1_31 Depth=1
	s_or_b32 exec_lo, exec_lo, s10
.LBB1_76:                               ;   in Loop: Header=BB1_31 Depth=1
	s_delay_alu instid0(SALU_CYCLE_1)
	s_or_b32 exec_lo, exec_lo, s5
	v_mov_b32_e32 v8, v9
                                        ; implicit-def: $vgpr22
.LBB1_77:                               ;   in Loop: Header=BB1_31 Depth=1
	s_or_saveexec_b32 s0, s4
	v_mov_b32_e32 v24, 0
	s_xor_b32 exec_lo, exec_lo, s0
	s_cbranch_execz .LBB1_79
; %bb.78:                               ;   in Loop: Header=BB1_31 Depth=1
	scratch_load_b64 v[20:21], v9, off
	v_add_nc_u32_e32 v24, -8, v22
.LBB1_79:                               ;   in Loop: Header=BB1_31 Depth=1
	s_wait_xcnt 0x0
	s_or_b32 exec_lo, exec_lo, s0
	s_delay_alu instid0(SALU_CYCLE_1) | instskip(NEXT) | instid1(VALU_DEP_1)
	s_mov_b32 s0, exec_lo
	v_cmpx_gt_u32_e32 8, v24
	s_xor_b32 s4, exec_lo, s0
	s_cbranch_execz .LBB1_85
; %bb.80:                               ;   in Loop: Header=BB1_31 Depth=1
	v_mov_b64_e32 v[22:23], 0
	s_mov_b32 s5, exec_lo
	v_cmpx_ne_u32_e32 0, v24
	s_cbranch_execz .LBB1_84
; %bb.81:                               ;   in Loop: Header=BB1_31 Depth=1
	v_mov_b64_e32 v[22:23], 0
	s_mov_b64 s[0:1], 0
	s_mov_b32 s10, 0
.LBB1_82:                               ;   Parent Loop BB1_31 Depth=1
                                        ; =>  This Inner Loop Header: Depth=2
	scratch_load_u8 v9, v8, off
	v_dual_mov_b32 v27, s7 :: v_dual_add_nc_u32 v24, -1, v24
	s_delay_alu instid0(VALU_DEP_1) | instskip(SKIP_3) | instid1(VALU_DEP_1)
	v_cmp_eq_u32_e32 vcc_lo, 0, v24
	s_or_b32 s10, vcc_lo, s10
	s_wait_loadcnt 0x0
	v_and_b32_e32 v26, 0xffff, v9
	v_lshlrev_b64_e32 v[26:27], s0, v[26:27]
	s_wait_xcnt 0x0
	v_add_nc_u32_e32 v8, 1, v8
	s_add_nc_u64 s[0:1], s[0:1], 8
	s_delay_alu instid0(VALU_DEP_2) | instskip(NEXT) | instid1(VALU_DEP_3)
	v_or_b32_e32 v23, v27, v23
	v_or_b32_e32 v22, v26, v22
	s_and_not1_b32 exec_lo, exec_lo, s10
	s_cbranch_execnz .LBB1_82
; %bb.83:                               ;   in Loop: Header=BB1_31 Depth=1
	s_or_b32 exec_lo, exec_lo, s10
.LBB1_84:                               ;   in Loop: Header=BB1_31 Depth=1
	s_delay_alu instid0(SALU_CYCLE_1)
	s_or_b32 exec_lo, exec_lo, s5
                                        ; implicit-def: $vgpr8
.LBB1_85:                               ;   in Loop: Header=BB1_31 Depth=1
	s_and_not1_saveexec_b32 s0, s4
	s_cbranch_execz .LBB1_87
; %bb.86:                               ;   in Loop: Header=BB1_31 Depth=1
	scratch_load_b64 v[22:23], v8, off
.LBB1_87:                               ;   in Loop: Header=BB1_31 Depth=1
	s_wait_xcnt 0x0
	s_or_b32 exec_lo, exec_lo, s0
	v_readfirstlane_b32 s0, v48
	v_mov_b64_e32 v[8:9], 0
	s_delay_alu instid0(VALU_DEP_2)
	v_cmp_eq_u32_e64 s0, s0, v48
	s_and_saveexec_b32 s1, s0
	s_cbranch_execz .LBB1_93
; %bb.88:                               ;   in Loop: Header=BB1_31 Depth=1
	global_load_b64 v[26:27], v31, s[2:3] offset:24 scope:SCOPE_SYS
	s_wait_loadcnt 0x0
	global_inv scope:SCOPE_SYS
	s_clause 0x1
	global_load_b64 v[8:9], v31, s[2:3] offset:40
	global_load_b64 v[24:25], v31, s[2:3]
	s_mov_b32 s4, exec_lo
	s_wait_loadcnt 0x1
	v_and_b32_e32 v8, v8, v26
	v_and_b32_e32 v9, v9, v27
	s_delay_alu instid0(VALU_DEP_1) | instskip(SKIP_1) | instid1(VALU_DEP_1)
	v_mul_u64_e32 v[8:9], 24, v[8:9]
	s_wait_loadcnt 0x0
	v_add_nc_u64_e32 v[8:9], v[24:25], v[8:9]
	global_load_b64 v[24:25], v[8:9], off scope:SCOPE_SYS
	s_wait_xcnt 0x0
	s_wait_loadcnt 0x0
	global_atomic_cmpswap_b64 v[8:9], v31, v[24:27], s[2:3] offset:24 th:TH_ATOMIC_RETURN scope:SCOPE_SYS
	s_wait_loadcnt 0x0
	global_inv scope:SCOPE_SYS
	s_wait_xcnt 0x0
	v_cmpx_ne_u64_e64 v[8:9], v[26:27]
	s_cbranch_execz .LBB1_92
; %bb.89:                               ;   in Loop: Header=BB1_31 Depth=1
	s_mov_b32 s5, 0
.LBB1_90:                               ;   Parent Loop BB1_31 Depth=1
                                        ; =>  This Inner Loop Header: Depth=2
	s_sleep 1
	s_clause 0x1
	global_load_b64 v[24:25], v31, s[2:3] offset:40
	global_load_b64 v[36:37], v31, s[2:3]
	v_mov_b64_e32 v[26:27], v[8:9]
	s_wait_loadcnt 0x1
	s_delay_alu instid0(VALU_DEP_1) | instskip(NEXT) | instid1(VALU_DEP_2)
	v_and_b32_e32 v8, v24, v26
	v_and_b32_e32 v24, v25, v27
	s_wait_loadcnt 0x0
	s_delay_alu instid0(VALU_DEP_2) | instskip(NEXT) | instid1(VALU_DEP_1)
	v_mad_nc_u64_u32 v[8:9], v8, 24, v[36:37]
	v_mad_u32 v9, v24, 24, v9
	global_load_b64 v[24:25], v[8:9], off scope:SCOPE_SYS
	s_wait_xcnt 0x0
	s_wait_loadcnt 0x0
	global_atomic_cmpswap_b64 v[8:9], v31, v[24:27], s[2:3] offset:24 th:TH_ATOMIC_RETURN scope:SCOPE_SYS
	s_wait_loadcnt 0x0
	global_inv scope:SCOPE_SYS
	v_cmp_eq_u64_e32 vcc_lo, v[8:9], v[26:27]
	s_or_b32 s5, vcc_lo, s5
	s_wait_xcnt 0x0
	s_and_not1_b32 exec_lo, exec_lo, s5
	s_cbranch_execnz .LBB1_90
; %bb.91:                               ;   in Loop: Header=BB1_31 Depth=1
	s_or_b32 exec_lo, exec_lo, s5
.LBB1_92:                               ;   in Loop: Header=BB1_31 Depth=1
	s_delay_alu instid0(SALU_CYCLE_1)
	s_or_b32 exec_lo, exec_lo, s4
.LBB1_93:                               ;   in Loop: Header=BB1_31 Depth=1
	s_delay_alu instid0(SALU_CYCLE_1)
	s_or_b32 exec_lo, exec_lo, s1
	s_clause 0x1
	global_load_b64 v[36:37], v31, s[2:3] offset:40
	global_load_b128 v[24:27], v31, s[2:3]
	v_readfirstlane_b32 s4, v8
	v_readfirstlane_b32 s5, v9
	s_mov_b32 s1, exec_lo
	s_wait_loadcnt 0x1
	v_and_b32_e32 v38, s4, v36
	v_and_b32_e32 v39, s5, v37
	s_delay_alu instid0(VALU_DEP_1) | instskip(SKIP_1) | instid1(VALU_DEP_1)
	v_mul_u64_e32 v[8:9], 24, v[38:39]
	s_wait_loadcnt 0x0
	v_add_nc_u64_e32 v[36:37], v[24:25], v[8:9]
	s_wait_xcnt 0x0
	s_and_saveexec_b32 s10, s0
	s_cbranch_execz .LBB1_95
; %bb.94:                               ;   in Loop: Header=BB1_31 Depth=1
	v_dual_mov_b32 v8, s1 :: v_dual_mov_b32 v9, v31
	global_store_b128 v[36:37], v[8:11], off offset:8
.LBB1_95:                               ;   in Loop: Header=BB1_31 Depth=1
	s_wait_xcnt 0x0
	s_or_b32 exec_lo, exec_lo, s10
	v_cmp_gt_u64_e32 vcc_lo, 57, v[32:33]
	v_lshlrev_b64_e32 v[8:9], 12, v[38:39]
	v_and_b32_e32 v0, 0xffffff1f, v0
	v_lshl_add_u32 v39, v34, 2, 28
	v_cndmask_b32_e32 v38, 0, v28, vcc_lo
	s_delay_alu instid0(VALU_DEP_4) | instskip(NEXT) | instid1(VALU_DEP_2)
	v_add_nc_u64_e32 v[8:9], v[26:27], v[8:9]
	v_or_b32_e32 v0, v0, v38
	s_delay_alu instid0(VALU_DEP_2) | instskip(NEXT) | instid1(VALU_DEP_3)
	v_readfirstlane_b32 s10, v8
	v_readfirstlane_b32 s11, v9
	s_delay_alu instid0(VALU_DEP_3)
	v_and_or_b32 v0, 0x1e0, v39, v0
	s_clause 0x3
	global_store_b128 v30, v[0:3], s[10:11]
	global_store_b128 v30, v[12:15], s[10:11] offset:16
	global_store_b128 v30, v[16:19], s[10:11] offset:32
	;; [unrolled: 1-line block ×3, first 2 shown]
	s_wait_xcnt 0x0
	s_and_saveexec_b32 s1, s0
	s_cbranch_execz .LBB1_103
; %bb.96:                               ;   in Loop: Header=BB1_31 Depth=1
	s_clause 0x1
	global_load_b64 v[16:17], v31, s[2:3] offset:32 scope:SCOPE_SYS
	global_load_b64 v[0:1], v31, s[2:3] offset:40
	s_mov_b32 s10, exec_lo
	v_dual_mov_b32 v14, s4 :: v_dual_mov_b32 v15, s5
	s_wait_loadcnt 0x0
	v_and_b32_e32 v1, s5, v1
	v_and_b32_e32 v0, s4, v0
	s_delay_alu instid0(VALU_DEP_1) | instskip(NEXT) | instid1(VALU_DEP_1)
	v_mul_u64_e32 v[0:1], 24, v[0:1]
	v_add_nc_u64_e32 v[12:13], v[24:25], v[0:1]
	global_store_b64 v[12:13], v[16:17], off
	global_wb scope:SCOPE_SYS
	s_wait_storecnt 0x0
	s_wait_xcnt 0x0
	global_atomic_cmpswap_b64 v[2:3], v31, v[14:17], s[2:3] offset:32 th:TH_ATOMIC_RETURN scope:SCOPE_SYS
	s_wait_loadcnt 0x0
	v_cmpx_ne_u64_e64 v[2:3], v[16:17]
	s_cbranch_execz .LBB1_99
; %bb.97:                               ;   in Loop: Header=BB1_31 Depth=1
	s_mov_b32 s11, 0
.LBB1_98:                               ;   Parent Loop BB1_31 Depth=1
                                        ; =>  This Inner Loop Header: Depth=2
	v_dual_mov_b32 v0, s4 :: v_dual_mov_b32 v1, s5
	s_sleep 1
	global_store_b64 v[12:13], v[2:3], off
	global_wb scope:SCOPE_SYS
	s_wait_storecnt 0x0
	s_wait_xcnt 0x0
	global_atomic_cmpswap_b64 v[0:1], v31, v[0:3], s[2:3] offset:32 th:TH_ATOMIC_RETURN scope:SCOPE_SYS
	s_wait_loadcnt 0x0
	v_cmp_eq_u64_e32 vcc_lo, v[0:1], v[2:3]
	v_mov_b64_e32 v[2:3], v[0:1]
	s_or_b32 s11, vcc_lo, s11
	s_delay_alu instid0(SALU_CYCLE_1)
	s_and_not1_b32 exec_lo, exec_lo, s11
	s_cbranch_execnz .LBB1_98
.LBB1_99:                               ;   in Loop: Header=BB1_31 Depth=1
	s_or_b32 exec_lo, exec_lo, s10
	global_load_b64 v[0:1], v31, s[2:3] offset:16
	s_mov_b32 s11, exec_lo
	s_mov_b32 s10, exec_lo
	v_mbcnt_lo_u32_b32 v2, s11, 0
	s_wait_xcnt 0x0
	s_delay_alu instid0(VALU_DEP_1)
	v_cmpx_eq_u32_e32 0, v2
	s_cbranch_execz .LBB1_101
; %bb.100:                              ;   in Loop: Header=BB1_31 Depth=1
	s_bcnt1_i32_b32 s11, s11
	s_delay_alu instid0(SALU_CYCLE_1)
	v_dual_mov_b32 v3, v31 :: v_dual_mov_b32 v2, s11
	global_wb scope:SCOPE_SYS
	s_wait_loadcnt 0x0
	s_wait_storecnt 0x0
	global_atomic_add_u64 v[0:1], v[2:3], off offset:8 scope:SCOPE_SYS
.LBB1_101:                              ;   in Loop: Header=BB1_31 Depth=1
	s_wait_xcnt 0x0
	s_or_b32 exec_lo, exec_lo, s10
	s_wait_loadcnt 0x0
	global_load_b64 v[2:3], v[0:1], off offset:16
	s_wait_loadcnt 0x0
	v_cmp_eq_u64_e32 vcc_lo, 0, v[2:3]
	s_cbranch_vccnz .LBB1_103
; %bb.102:                              ;   in Loop: Header=BB1_31 Depth=1
	global_load_b32 v0, v[0:1], off offset:24
	s_wait_xcnt 0x0
	v_mov_b32_e32 v1, v31
	s_wait_loadcnt 0x0
	v_readfirstlane_b32 s10, v0
	global_wb scope:SCOPE_SYS
	s_wait_storecnt 0x0
	global_store_b64 v[2:3], v[0:1], off scope:SCOPE_SYS
	s_and_b32 m0, s10, 0xffffff
	s_sendmsg sendmsg(MSG_INTERRUPT)
.LBB1_103:                              ;   in Loop: Header=BB1_31 Depth=1
	s_wait_xcnt 0x0
	s_or_b32 exec_lo, exec_lo, s1
	v_add_nc_u64_e32 v[0:1], v[8:9], v[30:31]
	s_branch .LBB1_107
.LBB1_104:                              ;   in Loop: Header=BB1_107 Depth=2
	s_wait_xcnt 0x0
	s_or_b32 exec_lo, exec_lo, s1
	s_delay_alu instid0(VALU_DEP_1)
	v_readfirstlane_b32 s1, v2
	s_cmp_eq_u32 s1, 0
	s_cbranch_scc1 .LBB1_106
; %bb.105:                              ;   in Loop: Header=BB1_107 Depth=2
	s_sleep 1
	s_cbranch_execnz .LBB1_107
	s_branch .LBB1_109
.LBB1_106:                              ;   in Loop: Header=BB1_31 Depth=1
	s_branch .LBB1_109
.LBB1_107:                              ;   Parent Loop BB1_31 Depth=1
                                        ; =>  This Inner Loop Header: Depth=2
	v_mov_b32_e32 v2, 1
	s_and_saveexec_b32 s1, s0
	s_cbranch_execz .LBB1_104
; %bb.108:                              ;   in Loop: Header=BB1_107 Depth=2
	global_load_b32 v2, v[36:37], off offset:20 scope:SCOPE_SYS
	s_wait_loadcnt 0x0
	global_inv scope:SCOPE_SYS
	v_and_b32_e32 v2, 1, v2
	s_branch .LBB1_104
.LBB1_109:                              ;   in Loop: Header=BB1_31 Depth=1
	global_load_b64 v[0:1], v[0:1], off
	s_wait_xcnt 0x0
	s_and_saveexec_b32 s10, s0
	s_cbranch_execz .LBB1_30
; %bb.110:                              ;   in Loop: Header=BB1_31 Depth=1
	s_clause 0x2
	global_load_b64 v[2:3], v31, s[2:3] offset:40
	global_load_b64 v[16:17], v31, s[2:3] offset:24 scope:SCOPE_SYS
	global_load_b64 v[8:9], v31, s[2:3]
	s_wait_loadcnt 0x2
	v_readfirstlane_b32 s12, v2
	v_readfirstlane_b32 s13, v3
	s_add_nc_u64 s[0:1], s[12:13], 1
	s_delay_alu instid0(SALU_CYCLE_1) | instskip(NEXT) | instid1(SALU_CYCLE_1)
	s_add_nc_u64 s[4:5], s[0:1], s[4:5]
	s_cmp_eq_u64 s[4:5], 0
	s_cselect_b32 s1, s1, s5
	s_cselect_b32 s0, s0, s4
	s_delay_alu instid0(SALU_CYCLE_1) | instskip(SKIP_1) | instid1(SALU_CYCLE_1)
	v_dual_mov_b32 v15, s1 :: v_dual_mov_b32 v14, s0
	s_and_b64 s[4:5], s[0:1], s[12:13]
	s_mul_u64 s[4:5], s[4:5], 24
	s_wait_loadcnt 0x0
	v_add_nc_u64_e32 v[2:3], s[4:5], v[8:9]
	global_store_b64 v[2:3], v[16:17], off
	global_wb scope:SCOPE_SYS
	s_wait_storecnt 0x0
	s_wait_xcnt 0x0
	global_atomic_cmpswap_b64 v[14:15], v31, v[14:17], s[2:3] offset:24 th:TH_ATOMIC_RETURN scope:SCOPE_SYS
	s_wait_loadcnt 0x0
	v_cmp_ne_u64_e32 vcc_lo, v[14:15], v[16:17]
	s_and_b32 exec_lo, exec_lo, vcc_lo
	s_cbranch_execz .LBB1_30
; %bb.111:                              ;   in Loop: Header=BB1_31 Depth=1
	s_mov_b32 s4, 0
.LBB1_112:                              ;   Parent Loop BB1_31 Depth=1
                                        ; =>  This Inner Loop Header: Depth=2
	v_dual_mov_b32 v12, s0 :: v_dual_mov_b32 v13, s1
	s_sleep 1
	global_store_b64 v[2:3], v[14:15], off
	global_wb scope:SCOPE_SYS
	s_wait_storecnt 0x0
	s_wait_xcnt 0x0
	global_atomic_cmpswap_b64 v[8:9], v31, v[12:15], s[2:3] offset:24 th:TH_ATOMIC_RETURN scope:SCOPE_SYS
	s_wait_loadcnt 0x0
	v_cmp_eq_u64_e32 vcc_lo, v[8:9], v[14:15]
	v_mov_b64_e32 v[14:15], v[8:9]
	s_or_b32 s4, vcc_lo, s4
	s_delay_alu instid0(SALU_CYCLE_1)
	s_and_not1_b32 exec_lo, exec_lo, s4
	s_cbranch_execnz .LBB1_112
	s_branch .LBB1_30
.LBB1_113:
                                        ; implicit-def: $vgpr0_vgpr1
	s_cbranch_execnz .LBB1_193
.LBB1_114:
	s_get_pc_i64 s[4:5]
	s_add_nc_u64 s[4:5], s[4:5], .str.4@rel64+4
	s_delay_alu instid0(SALU_CYCLE_1)
	s_cmp_lg_u64 s[4:5], 0
	s_cbranch_scc0 .LBB1_221
.LBB1_115:
	v_mov_b64_e32 v[12:13], 0x100000002
	s_get_pc_i64 s[0:1]
	s_add_nc_u64 s[0:1], s[0:1], .str.4@rel64+80
	s_wait_loadcnt 0x0
	v_dual_mov_b32 v11, 0 :: v_dual_bitop2_b32 v2, 2, v0 bitop3:0x40
	v_dual_mov_b32 v7, v1 :: v_dual_bitop2_b32 v6, -3, v0 bitop3:0x40
	s_sub_co_i32 s6, s0, s4
	s_delay_alu instid0(SALU_CYCLE_1)
	s_ashr_i32 s7, s6, 31
	s_branch .LBB1_117
.LBB1_116:                              ;   in Loop: Header=BB1_117 Depth=1
	s_or_b32 exec_lo, exec_lo, s14
	s_sub_nc_u64 s[6:7], s[6:7], s[10:11]
	s_add_nc_u64 s[4:5], s[4:5], s[10:11]
	s_cmp_lg_u64 s[6:7], 0
	s_cbranch_scc0 .LBB1_215
.LBB1_117:                              ; =>This Loop Header: Depth=1
                                        ;     Child Loop BB1_120 Depth 2
                                        ;     Child Loop BB1_127 Depth 2
	;; [unrolled: 1-line block ×11, first 2 shown]
	v_min_u64 v[8:9], s[6:7], 56
	v_cmp_gt_u64_e64 s0, s[6:7], 7
	s_and_b32 vcc_lo, exec_lo, s0
	v_readfirstlane_b32 s10, v8
	v_readfirstlane_b32 s11, v9
	s_cbranch_vccnz .LBB1_122
; %bb.118:                              ;   in Loop: Header=BB1_117 Depth=1
	v_mov_b64_e32 v[8:9], 0
	s_cmp_eq_u64 s[6:7], 0
	s_cbranch_scc1 .LBB1_121
; %bb.119:                              ;   in Loop: Header=BB1_117 Depth=1
	s_mov_b64 s[0:1], 0
	s_mov_b64 s[12:13], 0
.LBB1_120:                              ;   Parent Loop BB1_117 Depth=1
                                        ; =>  This Inner Loop Header: Depth=2
	s_wait_xcnt 0x0
	s_add_nc_u64 s[14:15], s[4:5], s[12:13]
	s_add_nc_u64 s[12:13], s[12:13], 1
	global_load_u8 v3, v11, s[14:15]
	s_cmp_lg_u32 s10, s12
	s_wait_loadcnt 0x0
	v_and_b32_e32 v10, 0xffff, v3
	s_delay_alu instid0(VALU_DEP_1) | instskip(SKIP_1) | instid1(VALU_DEP_1)
	v_lshlrev_b64_e32 v[14:15], s0, v[10:11]
	s_add_nc_u64 s[0:1], s[0:1], 8
	v_or_b32_e32 v8, v14, v8
	s_delay_alu instid0(VALU_DEP_2)
	v_or_b32_e32 v9, v15, v9
	s_cbranch_scc1 .LBB1_120
.LBB1_121:                              ;   in Loop: Header=BB1_117 Depth=1
	s_mov_b64 s[12:13], s[4:5]
	s_mov_b32 s16, 0
	s_cbranch_execz .LBB1_123
	s_branch .LBB1_124
.LBB1_122:                              ;   in Loop: Header=BB1_117 Depth=1
	s_add_nc_u64 s[12:13], s[4:5], 8
	s_mov_b32 s16, 0
.LBB1_123:                              ;   in Loop: Header=BB1_117 Depth=1
	global_load_b64 v[8:9], v11, s[4:5]
	s_add_co_i32 s16, s10, -8
.LBB1_124:                              ;   in Loop: Header=BB1_117 Depth=1
	s_delay_alu instid0(SALU_CYCLE_1)
	s_cmp_gt_u32 s16, 7
	s_cbranch_scc1 .LBB1_129
; %bb.125:                              ;   in Loop: Header=BB1_117 Depth=1
	v_mov_b64_e32 v[14:15], 0
	s_cmp_eq_u32 s16, 0
	s_cbranch_scc1 .LBB1_128
; %bb.126:                              ;   in Loop: Header=BB1_117 Depth=1
	s_mov_b64 s[0:1], 0
	s_wait_xcnt 0x0
	s_mov_b64 s[14:15], 0
.LBB1_127:                              ;   Parent Loop BB1_117 Depth=1
                                        ; =>  This Inner Loop Header: Depth=2
	s_wait_xcnt 0x0
	s_add_nc_u64 s[18:19], s[12:13], s[14:15]
	s_add_nc_u64 s[14:15], s[14:15], 1
	global_load_u8 v3, v11, s[18:19]
	s_cmp_lg_u32 s16, s14
	s_wait_loadcnt 0x0
	v_and_b32_e32 v10, 0xffff, v3
	s_delay_alu instid0(VALU_DEP_1) | instskip(SKIP_1) | instid1(VALU_DEP_1)
	v_lshlrev_b64_e32 v[16:17], s0, v[10:11]
	s_add_nc_u64 s[0:1], s[0:1], 8
	v_or_b32_e32 v14, v16, v14
	s_delay_alu instid0(VALU_DEP_2)
	v_or_b32_e32 v15, v17, v15
	s_cbranch_scc1 .LBB1_127
.LBB1_128:                              ;   in Loop: Header=BB1_117 Depth=1
	s_wait_xcnt 0x0
	s_mov_b64 s[0:1], s[12:13]
	s_mov_b32 s17, 0
	s_cbranch_execz .LBB1_130
	s_branch .LBB1_131
.LBB1_129:                              ;   in Loop: Header=BB1_117 Depth=1
	s_add_nc_u64 s[0:1], s[12:13], 8
	s_wait_xcnt 0x0
                                        ; implicit-def: $vgpr14_vgpr15
	s_mov_b32 s17, 0
.LBB1_130:                              ;   in Loop: Header=BB1_117 Depth=1
	global_load_b64 v[14:15], v11, s[12:13]
	s_add_co_i32 s17, s16, -8
.LBB1_131:                              ;   in Loop: Header=BB1_117 Depth=1
	s_delay_alu instid0(SALU_CYCLE_1)
	s_cmp_gt_u32 s17, 7
	s_cbranch_scc1 .LBB1_136
; %bb.132:                              ;   in Loop: Header=BB1_117 Depth=1
	v_mov_b64_e32 v[16:17], 0
	s_cmp_eq_u32 s17, 0
	s_cbranch_scc1 .LBB1_135
; %bb.133:                              ;   in Loop: Header=BB1_117 Depth=1
	s_wait_xcnt 0x0
	s_mov_b64 s[12:13], 0
	s_mov_b64 s[14:15], 0
.LBB1_134:                              ;   Parent Loop BB1_117 Depth=1
                                        ; =>  This Inner Loop Header: Depth=2
	s_wait_xcnt 0x0
	s_add_nc_u64 s[18:19], s[0:1], s[14:15]
	s_add_nc_u64 s[14:15], s[14:15], 1
	global_load_u8 v3, v11, s[18:19]
	s_cmp_lg_u32 s17, s14
	s_wait_loadcnt 0x0
	v_and_b32_e32 v10, 0xffff, v3
	s_delay_alu instid0(VALU_DEP_1) | instskip(SKIP_1) | instid1(VALU_DEP_1)
	v_lshlrev_b64_e32 v[18:19], s12, v[10:11]
	s_add_nc_u64 s[12:13], s[12:13], 8
	v_or_b32_e32 v16, v18, v16
	s_delay_alu instid0(VALU_DEP_2)
	v_or_b32_e32 v17, v19, v17
	s_cbranch_scc1 .LBB1_134
.LBB1_135:                              ;   in Loop: Header=BB1_117 Depth=1
	s_wait_xcnt 0x0
	s_mov_b64 s[12:13], s[0:1]
	s_mov_b32 s16, 0
	s_cbranch_execz .LBB1_137
	s_branch .LBB1_138
.LBB1_136:                              ;   in Loop: Header=BB1_117 Depth=1
	s_wait_xcnt 0x0
	s_add_nc_u64 s[12:13], s[0:1], 8
	s_mov_b32 s16, 0
.LBB1_137:                              ;   in Loop: Header=BB1_117 Depth=1
	global_load_b64 v[16:17], v11, s[0:1]
	s_add_co_i32 s16, s17, -8
.LBB1_138:                              ;   in Loop: Header=BB1_117 Depth=1
	s_delay_alu instid0(SALU_CYCLE_1)
	s_cmp_gt_u32 s16, 7
	s_cbranch_scc1 .LBB1_143
; %bb.139:                              ;   in Loop: Header=BB1_117 Depth=1
	v_mov_b64_e32 v[18:19], 0
	s_cmp_eq_u32 s16, 0
	s_cbranch_scc1 .LBB1_142
; %bb.140:                              ;   in Loop: Header=BB1_117 Depth=1
	s_wait_xcnt 0x0
	s_mov_b64 s[0:1], 0
	s_mov_b64 s[14:15], 0
.LBB1_141:                              ;   Parent Loop BB1_117 Depth=1
                                        ; =>  This Inner Loop Header: Depth=2
	s_wait_xcnt 0x0
	s_add_nc_u64 s[18:19], s[12:13], s[14:15]
	s_add_nc_u64 s[14:15], s[14:15], 1
	global_load_u8 v3, v11, s[18:19]
	s_cmp_lg_u32 s16, s14
	s_wait_loadcnt 0x0
	v_and_b32_e32 v10, 0xffff, v3
	s_delay_alu instid0(VALU_DEP_1) | instskip(SKIP_1) | instid1(VALU_DEP_1)
	v_lshlrev_b64_e32 v[20:21], s0, v[10:11]
	s_add_nc_u64 s[0:1], s[0:1], 8
	v_or_b32_e32 v18, v20, v18
	s_delay_alu instid0(VALU_DEP_2)
	v_or_b32_e32 v19, v21, v19
	s_cbranch_scc1 .LBB1_141
.LBB1_142:                              ;   in Loop: Header=BB1_117 Depth=1
	s_wait_xcnt 0x0
	s_mov_b64 s[0:1], s[12:13]
	s_mov_b32 s17, 0
	s_cbranch_execz .LBB1_144
	s_branch .LBB1_145
.LBB1_143:                              ;   in Loop: Header=BB1_117 Depth=1
	s_wait_xcnt 0x0
	s_add_nc_u64 s[0:1], s[12:13], 8
                                        ; implicit-def: $vgpr18_vgpr19
	s_mov_b32 s17, 0
.LBB1_144:                              ;   in Loop: Header=BB1_117 Depth=1
	global_load_b64 v[18:19], v11, s[12:13]
	s_add_co_i32 s17, s16, -8
.LBB1_145:                              ;   in Loop: Header=BB1_117 Depth=1
	s_delay_alu instid0(SALU_CYCLE_1)
	s_cmp_gt_u32 s17, 7
	s_cbranch_scc1 .LBB1_150
; %bb.146:                              ;   in Loop: Header=BB1_117 Depth=1
	v_mov_b64_e32 v[20:21], 0
	s_cmp_eq_u32 s17, 0
	s_cbranch_scc1 .LBB1_149
; %bb.147:                              ;   in Loop: Header=BB1_117 Depth=1
	s_wait_xcnt 0x0
	s_mov_b64 s[12:13], 0
	s_mov_b64 s[14:15], 0
.LBB1_148:                              ;   Parent Loop BB1_117 Depth=1
                                        ; =>  This Inner Loop Header: Depth=2
	s_wait_xcnt 0x0
	s_add_nc_u64 s[18:19], s[0:1], s[14:15]
	s_add_nc_u64 s[14:15], s[14:15], 1
	global_load_u8 v3, v11, s[18:19]
	s_cmp_lg_u32 s17, s14
	s_wait_loadcnt 0x0
	v_and_b32_e32 v10, 0xffff, v3
	s_delay_alu instid0(VALU_DEP_1) | instskip(SKIP_1) | instid1(VALU_DEP_1)
	v_lshlrev_b64_e32 v[22:23], s12, v[10:11]
	s_add_nc_u64 s[12:13], s[12:13], 8
	v_or_b32_e32 v20, v22, v20
	s_delay_alu instid0(VALU_DEP_2)
	v_or_b32_e32 v21, v23, v21
	s_cbranch_scc1 .LBB1_148
.LBB1_149:                              ;   in Loop: Header=BB1_117 Depth=1
	s_wait_xcnt 0x0
	s_mov_b64 s[12:13], s[0:1]
	s_mov_b32 s16, 0
	s_cbranch_execz .LBB1_151
	s_branch .LBB1_152
.LBB1_150:                              ;   in Loop: Header=BB1_117 Depth=1
	s_wait_xcnt 0x0
	s_add_nc_u64 s[12:13], s[0:1], 8
	s_mov_b32 s16, 0
.LBB1_151:                              ;   in Loop: Header=BB1_117 Depth=1
	global_load_b64 v[20:21], v11, s[0:1]
	s_add_co_i32 s16, s17, -8
.LBB1_152:                              ;   in Loop: Header=BB1_117 Depth=1
	s_delay_alu instid0(SALU_CYCLE_1)
	s_cmp_gt_u32 s16, 7
	s_cbranch_scc1 .LBB1_157
; %bb.153:                              ;   in Loop: Header=BB1_117 Depth=1
	v_mov_b64_e32 v[22:23], 0
	s_cmp_eq_u32 s16, 0
	s_cbranch_scc1 .LBB1_156
; %bb.154:                              ;   in Loop: Header=BB1_117 Depth=1
	s_wait_xcnt 0x0
	s_mov_b64 s[0:1], 0
	s_mov_b64 s[14:15], 0
.LBB1_155:                              ;   Parent Loop BB1_117 Depth=1
                                        ; =>  This Inner Loop Header: Depth=2
	s_wait_xcnt 0x0
	s_add_nc_u64 s[18:19], s[12:13], s[14:15]
	s_add_nc_u64 s[14:15], s[14:15], 1
	global_load_u8 v3, v11, s[18:19]
	s_cmp_lg_u32 s16, s14
	s_wait_loadcnt 0x0
	v_and_b32_e32 v10, 0xffff, v3
	s_delay_alu instid0(VALU_DEP_1) | instskip(SKIP_1) | instid1(VALU_DEP_1)
	v_lshlrev_b64_e32 v[24:25], s0, v[10:11]
	s_add_nc_u64 s[0:1], s[0:1], 8
	v_or_b32_e32 v22, v24, v22
	s_delay_alu instid0(VALU_DEP_2)
	v_or_b32_e32 v23, v25, v23
	s_cbranch_scc1 .LBB1_155
.LBB1_156:                              ;   in Loop: Header=BB1_117 Depth=1
	s_wait_xcnt 0x0
	s_mov_b64 s[0:1], s[12:13]
	s_mov_b32 s17, 0
	s_cbranch_execz .LBB1_158
	s_branch .LBB1_159
.LBB1_157:                              ;   in Loop: Header=BB1_117 Depth=1
	s_wait_xcnt 0x0
	s_add_nc_u64 s[0:1], s[12:13], 8
                                        ; implicit-def: $vgpr22_vgpr23
	s_mov_b32 s17, 0
.LBB1_158:                              ;   in Loop: Header=BB1_117 Depth=1
	global_load_b64 v[22:23], v11, s[12:13]
	s_add_co_i32 s17, s16, -8
.LBB1_159:                              ;   in Loop: Header=BB1_117 Depth=1
	s_delay_alu instid0(SALU_CYCLE_1)
	s_cmp_gt_u32 s17, 7
	s_cbranch_scc1 .LBB1_164
; %bb.160:                              ;   in Loop: Header=BB1_117 Depth=1
	v_mov_b64_e32 v[24:25], 0
	s_cmp_eq_u32 s17, 0
	s_cbranch_scc1 .LBB1_163
; %bb.161:                              ;   in Loop: Header=BB1_117 Depth=1
	s_wait_xcnt 0x0
	s_mov_b64 s[12:13], 0
	s_mov_b64 s[14:15], s[0:1]
.LBB1_162:                              ;   Parent Loop BB1_117 Depth=1
                                        ; =>  This Inner Loop Header: Depth=2
	global_load_u8 v3, v11, s[14:15]
	s_add_co_i32 s17, s17, -1
	s_wait_xcnt 0x0
	s_add_nc_u64 s[14:15], s[14:15], 1
	s_cmp_lg_u32 s17, 0
	s_wait_loadcnt 0x0
	v_and_b32_e32 v10, 0xffff, v3
	s_delay_alu instid0(VALU_DEP_1) | instskip(SKIP_1) | instid1(VALU_DEP_1)
	v_lshlrev_b64_e32 v[26:27], s12, v[10:11]
	s_add_nc_u64 s[12:13], s[12:13], 8
	v_or_b32_e32 v24, v26, v24
	s_delay_alu instid0(VALU_DEP_2)
	v_or_b32_e32 v25, v27, v25
	s_cbranch_scc1 .LBB1_162
.LBB1_163:                              ;   in Loop: Header=BB1_117 Depth=1
	s_wait_xcnt 0x0
	s_cbranch_execz .LBB1_165
	s_branch .LBB1_166
.LBB1_164:                              ;   in Loop: Header=BB1_117 Depth=1
	s_wait_xcnt 0x0
.LBB1_165:                              ;   in Loop: Header=BB1_117 Depth=1
	global_load_b64 v[24:25], v11, s[0:1]
.LBB1_166:                              ;   in Loop: Header=BB1_117 Depth=1
	s_wait_xcnt 0x0
	v_readfirstlane_b32 s0, v48
	v_mov_b64_e32 v[32:33], 0
	s_delay_alu instid0(VALU_DEP_2)
	v_cmp_eq_u32_e64 s0, s0, v48
	s_and_saveexec_b32 s1, s0
	s_cbranch_execz .LBB1_172
; %bb.167:                              ;   in Loop: Header=BB1_117 Depth=1
	global_load_b64 v[28:29], v11, s[2:3] offset:24 scope:SCOPE_SYS
	s_wait_loadcnt 0x0
	global_inv scope:SCOPE_SYS
	s_clause 0x1
	global_load_b64 v[26:27], v11, s[2:3] offset:40
	global_load_b64 v[32:33], v11, s[2:3]
	s_mov_b32 s12, exec_lo
	s_wait_loadcnt 0x1
	v_and_b32_e32 v26, v26, v28
	v_and_b32_e32 v27, v27, v29
	s_delay_alu instid0(VALU_DEP_1) | instskip(SKIP_1) | instid1(VALU_DEP_1)
	v_mul_u64_e32 v[26:27], 24, v[26:27]
	s_wait_loadcnt 0x0
	v_add_nc_u64_e32 v[26:27], v[32:33], v[26:27]
	global_load_b64 v[26:27], v[26:27], off scope:SCOPE_SYS
	s_wait_xcnt 0x0
	s_wait_loadcnt 0x0
	global_atomic_cmpswap_b64 v[32:33], v11, v[26:29], s[2:3] offset:24 th:TH_ATOMIC_RETURN scope:SCOPE_SYS
	s_wait_loadcnt 0x0
	global_inv scope:SCOPE_SYS
	s_wait_xcnt 0x0
	v_cmpx_ne_u64_e64 v[32:33], v[28:29]
	s_cbranch_execz .LBB1_171
; %bb.168:                              ;   in Loop: Header=BB1_117 Depth=1
	s_mov_b32 s13, 0
.LBB1_169:                              ;   Parent Loop BB1_117 Depth=1
                                        ; =>  This Inner Loop Header: Depth=2
	s_sleep 1
	s_clause 0x1
	global_load_b64 v[26:27], v11, s[2:3] offset:40
	global_load_b64 v[34:35], v11, s[2:3]
	v_mov_b64_e32 v[28:29], v[32:33]
	s_wait_loadcnt 0x1
	s_delay_alu instid0(VALU_DEP_1) | instskip(SKIP_1) | instid1(VALU_DEP_1)
	v_and_b32_e32 v3, v26, v28
	s_wait_loadcnt 0x0
	v_mad_nc_u64_u32 v[32:33], v3, 24, v[34:35]
	s_delay_alu instid0(VALU_DEP_3) | instskip(NEXT) | instid1(VALU_DEP_1)
	v_and_b32_e32 v3, v27, v29
	v_mad_u32 v33, v3, 24, v33
	global_load_b64 v[26:27], v[32:33], off scope:SCOPE_SYS
	s_wait_xcnt 0x0
	s_wait_loadcnt 0x0
	global_atomic_cmpswap_b64 v[32:33], v11, v[26:29], s[2:3] offset:24 th:TH_ATOMIC_RETURN scope:SCOPE_SYS
	s_wait_loadcnt 0x0
	global_inv scope:SCOPE_SYS
	v_cmp_eq_u64_e32 vcc_lo, v[32:33], v[28:29]
	s_or_b32 s13, vcc_lo, s13
	s_wait_xcnt 0x0
	s_and_not1_b32 exec_lo, exec_lo, s13
	s_cbranch_execnz .LBB1_169
; %bb.170:                              ;   in Loop: Header=BB1_117 Depth=1
	s_or_b32 exec_lo, exec_lo, s13
.LBB1_171:                              ;   in Loop: Header=BB1_117 Depth=1
	s_delay_alu instid0(SALU_CYCLE_1)
	s_or_b32 exec_lo, exec_lo, s12
.LBB1_172:                              ;   in Loop: Header=BB1_117 Depth=1
	s_delay_alu instid0(SALU_CYCLE_1)
	s_or_b32 exec_lo, exec_lo, s1
	s_clause 0x1
	global_load_b64 v[34:35], v11, s[2:3] offset:40
	global_load_b128 v[26:29], v11, s[2:3]
	v_readfirstlane_b32 s12, v32
	v_readfirstlane_b32 s13, v33
	s_mov_b32 s1, exec_lo
	s_wait_loadcnt 0x1
	v_and_b32_e32 v34, s12, v34
	v_and_b32_e32 v35, s13, v35
	s_delay_alu instid0(VALU_DEP_1) | instskip(SKIP_1) | instid1(VALU_DEP_1)
	v_mul_u64_e32 v[32:33], 24, v[34:35]
	s_wait_loadcnt 0x0
	v_add_nc_u64_e32 v[32:33], v[26:27], v[32:33]
	s_wait_xcnt 0x0
	s_and_saveexec_b32 s14, s0
	s_cbranch_execz .LBB1_174
; %bb.173:                              ;   in Loop: Header=BB1_117 Depth=1
	v_mov_b32_e32 v10, s1
	global_store_b128 v[32:33], v[10:13], off offset:8
.LBB1_174:                              ;   in Loop: Header=BB1_117 Depth=1
	s_wait_xcnt 0x0
	s_or_b32 exec_lo, exec_lo, s14
	v_cmp_lt_u64_e64 vcc_lo, s[6:7], 57
	v_lshlrev_b64_e32 v[34:35], 12, v[34:35]
	v_and_b32_e32 v6, 0xffffff1f, v6
	s_lshl_b32 s1, s10, 2
	s_delay_alu instid0(SALU_CYCLE_1) | instskip(SKIP_1) | instid1(VALU_DEP_3)
	s_add_co_i32 s1, s1, 28
	v_cndmask_b32_e32 v3, 0, v2, vcc_lo
	v_add_nc_u64_e32 v[28:29], v[28:29], v[34:35]
	s_delay_alu instid0(VALU_DEP_2) | instskip(NEXT) | instid1(VALU_DEP_2)
	v_or_b32_e32 v3, v6, v3
	v_readfirstlane_b32 s14, v28
	s_delay_alu instid0(VALU_DEP_3) | instskip(NEXT) | instid1(VALU_DEP_3)
	v_readfirstlane_b32 s15, v29
	v_and_or_b32 v6, 0x1e0, s1, v3
	s_clause 0x3
	global_store_b128 v30, v[6:9], s[14:15]
	global_store_b128 v30, v[14:17], s[14:15] offset:16
	global_store_b128 v30, v[18:21], s[14:15] offset:32
	;; [unrolled: 1-line block ×3, first 2 shown]
	s_wait_xcnt 0x0
	s_and_saveexec_b32 s1, s0
	s_cbranch_execz .LBB1_182
; %bb.175:                              ;   in Loop: Header=BB1_117 Depth=1
	s_clause 0x1
	global_load_b64 v[18:19], v11, s[2:3] offset:32 scope:SCOPE_SYS
	global_load_b64 v[6:7], v11, s[2:3] offset:40
	s_mov_b32 s14, exec_lo
	v_dual_mov_b32 v16, s12 :: v_dual_mov_b32 v17, s13
	s_wait_loadcnt 0x0
	v_and_b32_e32 v7, s13, v7
	v_and_b32_e32 v6, s12, v6
	s_delay_alu instid0(VALU_DEP_1) | instskip(NEXT) | instid1(VALU_DEP_1)
	v_mul_u64_e32 v[6:7], 24, v[6:7]
	v_add_nc_u64_e32 v[14:15], v[26:27], v[6:7]
	global_store_b64 v[14:15], v[18:19], off
	global_wb scope:SCOPE_SYS
	s_wait_storecnt 0x0
	s_wait_xcnt 0x0
	global_atomic_cmpswap_b64 v[8:9], v11, v[16:19], s[2:3] offset:32 th:TH_ATOMIC_RETURN scope:SCOPE_SYS
	s_wait_loadcnt 0x0
	v_cmpx_ne_u64_e64 v[8:9], v[18:19]
	s_cbranch_execz .LBB1_178
; %bb.176:                              ;   in Loop: Header=BB1_117 Depth=1
	s_mov_b32 s15, 0
.LBB1_177:                              ;   Parent Loop BB1_117 Depth=1
                                        ; =>  This Inner Loop Header: Depth=2
	v_dual_mov_b32 v6, s12 :: v_dual_mov_b32 v7, s13
	s_sleep 1
	global_store_b64 v[14:15], v[8:9], off
	global_wb scope:SCOPE_SYS
	s_wait_storecnt 0x0
	s_wait_xcnt 0x0
	global_atomic_cmpswap_b64 v[6:7], v11, v[6:9], s[2:3] offset:32 th:TH_ATOMIC_RETURN scope:SCOPE_SYS
	s_wait_loadcnt 0x0
	v_cmp_eq_u64_e32 vcc_lo, v[6:7], v[8:9]
	v_mov_b64_e32 v[8:9], v[6:7]
	s_or_b32 s15, vcc_lo, s15
	s_delay_alu instid0(SALU_CYCLE_1)
	s_and_not1_b32 exec_lo, exec_lo, s15
	s_cbranch_execnz .LBB1_177
.LBB1_178:                              ;   in Loop: Header=BB1_117 Depth=1
	s_or_b32 exec_lo, exec_lo, s14
	global_load_b64 v[6:7], v11, s[2:3] offset:16
	s_mov_b32 s15, exec_lo
	s_mov_b32 s14, exec_lo
	v_mbcnt_lo_u32_b32 v3, s15, 0
	s_wait_xcnt 0x0
	s_delay_alu instid0(VALU_DEP_1)
	v_cmpx_eq_u32_e32 0, v3
	s_cbranch_execz .LBB1_180
; %bb.179:                              ;   in Loop: Header=BB1_117 Depth=1
	s_bcnt1_i32_b32 s15, s15
	s_delay_alu instid0(SALU_CYCLE_1)
	v_mov_b32_e32 v10, s15
	global_wb scope:SCOPE_SYS
	s_wait_loadcnt 0x0
	s_wait_storecnt 0x0
	global_atomic_add_u64 v[6:7], v[10:11], off offset:8 scope:SCOPE_SYS
.LBB1_180:                              ;   in Loop: Header=BB1_117 Depth=1
	s_wait_xcnt 0x0
	s_or_b32 exec_lo, exec_lo, s14
	s_wait_loadcnt 0x0
	global_load_b64 v[8:9], v[6:7], off offset:16
	s_wait_loadcnt 0x0
	v_cmp_eq_u64_e32 vcc_lo, 0, v[8:9]
	s_cbranch_vccnz .LBB1_182
; %bb.181:                              ;   in Loop: Header=BB1_117 Depth=1
	global_load_b32 v10, v[6:7], off offset:24
	s_wait_loadcnt 0x0
	v_readfirstlane_b32 s14, v10
	global_wb scope:SCOPE_SYS
	s_wait_storecnt 0x0
	s_wait_xcnt 0x0
	global_store_b64 v[8:9], v[10:11], off scope:SCOPE_SYS
	s_and_b32 m0, s14, 0xffffff
	s_sendmsg sendmsg(MSG_INTERRUPT)
.LBB1_182:                              ;   in Loop: Header=BB1_117 Depth=1
	s_wait_xcnt 0x0
	s_or_b32 exec_lo, exec_lo, s1
	v_mov_b32_e32 v31, v11
	s_delay_alu instid0(VALU_DEP_1)
	v_add_nc_u64_e32 v[6:7], v[28:29], v[30:31]
	s_branch .LBB1_186
.LBB1_183:                              ;   in Loop: Header=BB1_186 Depth=2
	s_wait_xcnt 0x0
	s_or_b32 exec_lo, exec_lo, s1
	s_delay_alu instid0(VALU_DEP_1)
	v_readfirstlane_b32 s1, v3
	s_cmp_eq_u32 s1, 0
	s_cbranch_scc1 .LBB1_185
; %bb.184:                              ;   in Loop: Header=BB1_186 Depth=2
	s_sleep 1
	s_cbranch_execnz .LBB1_186
	s_branch .LBB1_188
.LBB1_185:                              ;   in Loop: Header=BB1_117 Depth=1
	s_branch .LBB1_188
.LBB1_186:                              ;   Parent Loop BB1_117 Depth=1
                                        ; =>  This Inner Loop Header: Depth=2
	v_mov_b32_e32 v3, 1
	s_and_saveexec_b32 s1, s0
	s_cbranch_execz .LBB1_183
; %bb.187:                              ;   in Loop: Header=BB1_186 Depth=2
	global_load_b32 v3, v[32:33], off offset:20 scope:SCOPE_SYS
	s_wait_loadcnt 0x0
	global_inv scope:SCOPE_SYS
	v_and_b32_e32 v3, 1, v3
	s_branch .LBB1_183
.LBB1_188:                              ;   in Loop: Header=BB1_117 Depth=1
	global_load_b64 v[6:7], v[6:7], off
	s_wait_xcnt 0x0
	s_and_saveexec_b32 s14, s0
	s_cbranch_execz .LBB1_116
; %bb.189:                              ;   in Loop: Header=BB1_117 Depth=1
	s_clause 0x2
	global_load_b64 v[8:9], v11, s[2:3] offset:40
	global_load_b64 v[18:19], v11, s[2:3] offset:24 scope:SCOPE_SYS
	global_load_b64 v[14:15], v11, s[2:3]
	s_wait_loadcnt 0x2
	v_readfirstlane_b32 s16, v8
	v_readfirstlane_b32 s17, v9
	s_add_nc_u64 s[0:1], s[16:17], 1
	s_delay_alu instid0(SALU_CYCLE_1) | instskip(NEXT) | instid1(SALU_CYCLE_1)
	s_add_nc_u64 s[12:13], s[0:1], s[12:13]
	s_cmp_eq_u64 s[12:13], 0
	s_cselect_b32 s1, s1, s13
	s_cselect_b32 s0, s0, s12
	s_delay_alu instid0(SALU_CYCLE_1) | instskip(SKIP_1) | instid1(SALU_CYCLE_1)
	v_dual_mov_b32 v17, s1 :: v_dual_mov_b32 v16, s0
	s_and_b64 s[12:13], s[0:1], s[16:17]
	s_mul_u64 s[12:13], s[12:13], 24
	s_wait_loadcnt 0x0
	v_add_nc_u64_e32 v[8:9], s[12:13], v[14:15]
	global_store_b64 v[8:9], v[18:19], off
	global_wb scope:SCOPE_SYS
	s_wait_storecnt 0x0
	s_wait_xcnt 0x0
	global_atomic_cmpswap_b64 v[16:17], v11, v[16:19], s[2:3] offset:24 th:TH_ATOMIC_RETURN scope:SCOPE_SYS
	s_wait_loadcnt 0x0
	v_cmp_ne_u64_e32 vcc_lo, v[16:17], v[18:19]
	s_and_b32 exec_lo, exec_lo, vcc_lo
	s_cbranch_execz .LBB1_116
; %bb.190:                              ;   in Loop: Header=BB1_117 Depth=1
	s_mov_b32 s12, 0
.LBB1_191:                              ;   Parent Loop BB1_117 Depth=1
                                        ; =>  This Inner Loop Header: Depth=2
	v_dual_mov_b32 v14, s0 :: v_dual_mov_b32 v15, s1
	s_sleep 1
	global_store_b64 v[8:9], v[16:17], off
	global_wb scope:SCOPE_SYS
	s_wait_storecnt 0x0
	s_wait_xcnt 0x0
	global_atomic_cmpswap_b64 v[14:15], v11, v[14:17], s[2:3] offset:24 th:TH_ATOMIC_RETURN scope:SCOPE_SYS
	s_wait_loadcnt 0x0
	v_cmp_eq_u64_e32 vcc_lo, v[14:15], v[16:17]
	v_mov_b64_e32 v[16:17], v[14:15]
	s_or_b32 s12, vcc_lo, s12
	s_delay_alu instid0(SALU_CYCLE_1)
	s_and_not1_b32 exec_lo, exec_lo, s12
	s_cbranch_execnz .LBB1_191
	s_branch .LBB1_116
.LBB1_192:
	s_or_b32 exec_lo, exec_lo, s6
	s_branch .LBB1_114
.LBB1_193:
	v_readfirstlane_b32 s0, v48
	v_mov_b64_e32 v[8:9], 0
	s_delay_alu instid0(VALU_DEP_2)
	v_cmp_eq_u32_e64 s0, s0, v48
	s_and_saveexec_b32 s1, s0
	s_cbranch_execz .LBB1_199
; %bb.194:
	s_wait_loadcnt 0x0
	v_mov_b32_e32 v0, 0
	s_mov_b32 s4, exec_lo
	global_load_b64 v[10:11], v0, s[2:3] offset:24 scope:SCOPE_SYS
	s_wait_loadcnt 0x0
	global_inv scope:SCOPE_SYS
	s_clause 0x1
	global_load_b64 v[2:3], v0, s[2:3] offset:40
	global_load_b64 v[8:9], v0, s[2:3]
	s_wait_loadcnt 0x1
	v_and_b32_e32 v2, v2, v10
	v_and_b32_e32 v3, v3, v11
	s_delay_alu instid0(VALU_DEP_1) | instskip(SKIP_1) | instid1(VALU_DEP_1)
	v_mul_u64_e32 v[2:3], 24, v[2:3]
	s_wait_loadcnt 0x0
	v_add_nc_u64_e32 v[2:3], v[8:9], v[2:3]
	global_load_b64 v[8:9], v[2:3], off scope:SCOPE_SYS
	s_wait_xcnt 0x0
	s_wait_loadcnt 0x0
	global_atomic_cmpswap_b64 v[8:9], v0, v[8:11], s[2:3] offset:24 th:TH_ATOMIC_RETURN scope:SCOPE_SYS
	s_wait_loadcnt 0x0
	global_inv scope:SCOPE_SYS
	s_wait_xcnt 0x0
	v_cmpx_ne_u64_e64 v[8:9], v[10:11]
	s_cbranch_execz .LBB1_198
; %bb.195:
	s_mov_b32 s5, 0
.LBB1_196:                              ; =>This Inner Loop Header: Depth=1
	s_sleep 1
	s_clause 0x1
	global_load_b64 v[2:3], v0, s[2:3] offset:40
	global_load_b64 v[12:13], v0, s[2:3]
	v_mov_b64_e32 v[10:11], v[8:9]
	s_wait_loadcnt 0x1
	s_delay_alu instid0(VALU_DEP_1) | instskip(SKIP_1) | instid1(VALU_DEP_1)
	v_and_b32_e32 v1, v2, v10
	s_wait_loadcnt 0x0
	v_mad_nc_u64_u32 v[8:9], v1, 24, v[12:13]
	s_delay_alu instid0(VALU_DEP_3) | instskip(NEXT) | instid1(VALU_DEP_1)
	v_and_b32_e32 v1, v3, v11
	v_mad_u32 v9, v1, 24, v9
	global_load_b64 v[8:9], v[8:9], off scope:SCOPE_SYS
	s_wait_xcnt 0x0
	s_wait_loadcnt 0x0
	global_atomic_cmpswap_b64 v[8:9], v0, v[8:11], s[2:3] offset:24 th:TH_ATOMIC_RETURN scope:SCOPE_SYS
	s_wait_loadcnt 0x0
	global_inv scope:SCOPE_SYS
	v_cmp_eq_u64_e32 vcc_lo, v[8:9], v[10:11]
	s_or_b32 s5, vcc_lo, s5
	s_wait_xcnt 0x0
	s_and_not1_b32 exec_lo, exec_lo, s5
	s_cbranch_execnz .LBB1_196
; %bb.197:
	s_or_b32 exec_lo, exec_lo, s5
.LBB1_198:
	s_delay_alu instid0(SALU_CYCLE_1)
	s_or_b32 exec_lo, exec_lo, s4
.LBB1_199:
	s_delay_alu instid0(SALU_CYCLE_1)
	s_or_b32 exec_lo, exec_lo, s1
	v_readfirstlane_b32 s4, v8
	v_mov_b32_e32 v31, 0
	v_readfirstlane_b32 s5, v9
	s_mov_b32 s1, exec_lo
	global_load_b64 v[10:11], v31, s[2:3] offset:40
	s_wait_loadcnt 0x1
	global_load_b128 v[0:3], v31, s[2:3]
	s_wait_loadcnt 0x1
	v_and_b32_e32 v8, s4, v10
	v_and_b32_e32 v9, s5, v11
	s_delay_alu instid0(VALU_DEP_1) | instskip(SKIP_1) | instid1(VALU_DEP_1)
	v_mul_u64_e32 v[10:11], 24, v[8:9]
	s_wait_loadcnt 0x0
	v_add_nc_u64_e32 v[10:11], v[0:1], v[10:11]
	s_wait_xcnt 0x0
	s_and_saveexec_b32 s6, s0
	s_cbranch_execz .LBB1_201
; %bb.200:
	v_mov_b64_e32 v[14:15], 0x100000002
	v_dual_mov_b32 v12, s1 :: v_dual_mov_b32 v13, v31
	global_store_b128 v[10:11], v[12:15], off offset:8
.LBB1_201:
	s_wait_xcnt 0x0
	s_or_b32 exec_lo, exec_lo, s6
	v_lshlrev_b64_e32 v[8:9], 12, v[8:9]
	s_mov_b32 s12, 0
	v_and_or_b32 v6, 0xffffff1f, v6, 32
	s_mov_b32 s14, s12
	s_mov_b32 s15, s12
	;; [unrolled: 1-line block ×3, first 2 shown]
	v_mov_b64_e32 v[16:17], s[14:15]
	v_add_nc_u64_e32 v[12:13], v[2:3], v[8:9]
	v_mov_b64_e32 v[14:15], s[12:13]
	v_dual_mov_b32 v8, v31 :: v_dual_mov_b32 v9, v31
	s_delay_alu instid0(VALU_DEP_3) | instskip(NEXT) | instid1(VALU_DEP_4)
	v_readfirstlane_b32 s6, v12
	v_readfirstlane_b32 s7, v13
	s_clause 0x3
	global_store_b128 v30, v[6:9], s[6:7]
	global_store_b128 v30, v[14:17], s[6:7] offset:16
	global_store_b128 v30, v[14:17], s[6:7] offset:32
	;; [unrolled: 1-line block ×3, first 2 shown]
	s_wait_xcnt 0x0
	s_and_saveexec_b32 s1, s0
	s_cbranch_execz .LBB1_209
; %bb.202:
	v_dual_mov_b32 v8, 0 :: v_dual_mov_b32 v15, s5
	s_mov_b32 s6, exec_lo
	s_clause 0x1
	global_load_b64 v[16:17], v8, s[2:3] offset:32 scope:SCOPE_SYS
	global_load_b64 v[2:3], v8, s[2:3] offset:40
	s_wait_loadcnt 0x0
	v_dual_mov_b32 v14, s4 :: v_dual_bitop2_b32 v3, s5, v3 bitop3:0x40
	v_and_b32_e32 v2, s4, v2
	s_delay_alu instid0(VALU_DEP_1) | instskip(NEXT) | instid1(VALU_DEP_1)
	v_mul_u64_e32 v[2:3], 24, v[2:3]
	v_add_nc_u64_e32 v[6:7], v[0:1], v[2:3]
	global_store_b64 v[6:7], v[16:17], off
	global_wb scope:SCOPE_SYS
	s_wait_storecnt 0x0
	s_wait_xcnt 0x0
	global_atomic_cmpswap_b64 v[2:3], v8, v[14:17], s[2:3] offset:32 th:TH_ATOMIC_RETURN scope:SCOPE_SYS
	s_wait_loadcnt 0x0
	v_cmpx_ne_u64_e64 v[2:3], v[16:17]
	s_cbranch_execz .LBB1_205
; %bb.203:
	s_mov_b32 s7, 0
.LBB1_204:                              ; =>This Inner Loop Header: Depth=1
	v_dual_mov_b32 v0, s4 :: v_dual_mov_b32 v1, s5
	s_sleep 1
	global_store_b64 v[6:7], v[2:3], off
	global_wb scope:SCOPE_SYS
	s_wait_storecnt 0x0
	s_wait_xcnt 0x0
	global_atomic_cmpswap_b64 v[0:1], v8, v[0:3], s[2:3] offset:32 th:TH_ATOMIC_RETURN scope:SCOPE_SYS
	s_wait_loadcnt 0x0
	v_cmp_eq_u64_e32 vcc_lo, v[0:1], v[2:3]
	v_mov_b64_e32 v[2:3], v[0:1]
	s_or_b32 s7, vcc_lo, s7
	s_delay_alu instid0(SALU_CYCLE_1)
	s_and_not1_b32 exec_lo, exec_lo, s7
	s_cbranch_execnz .LBB1_204
.LBB1_205:
	s_or_b32 exec_lo, exec_lo, s6
	v_mov_b32_e32 v3, 0
	s_mov_b32 s7, exec_lo
	s_mov_b32 s6, exec_lo
	v_mbcnt_lo_u32_b32 v2, s7, 0
	global_load_b64 v[0:1], v3, s[2:3] offset:16
	s_wait_xcnt 0x0
	v_cmpx_eq_u32_e32 0, v2
	s_cbranch_execz .LBB1_207
; %bb.206:
	s_bcnt1_i32_b32 s7, s7
	s_delay_alu instid0(SALU_CYCLE_1)
	v_mov_b32_e32 v2, s7
	global_wb scope:SCOPE_SYS
	s_wait_loadcnt 0x0
	s_wait_storecnt 0x0
	global_atomic_add_u64 v[0:1], v[2:3], off offset:8 scope:SCOPE_SYS
.LBB1_207:
	s_wait_xcnt 0x0
	s_or_b32 exec_lo, exec_lo, s6
	s_wait_loadcnt 0x0
	global_load_b64 v[2:3], v[0:1], off offset:16
	s_wait_loadcnt 0x0
	v_cmp_eq_u64_e32 vcc_lo, 0, v[2:3]
	s_cbranch_vccnz .LBB1_209
; %bb.208:
	global_load_b32 v0, v[0:1], off offset:24
	s_wait_xcnt 0x0
	v_mov_b32_e32 v1, 0
	s_wait_loadcnt 0x0
	v_readfirstlane_b32 s6, v0
	global_wb scope:SCOPE_SYS
	s_wait_storecnt 0x0
	global_store_b64 v[2:3], v[0:1], off scope:SCOPE_SYS
	s_and_b32 m0, s6, 0xffffff
	s_sendmsg sendmsg(MSG_INTERRUPT)
.LBB1_209:
	s_wait_xcnt 0x0
	s_or_b32 exec_lo, exec_lo, s1
	v_add_nc_u64_e32 v[0:1], v[12:13], v[30:31]
	s_branch .LBB1_213
.LBB1_210:                              ;   in Loop: Header=BB1_213 Depth=1
	s_wait_xcnt 0x0
	s_or_b32 exec_lo, exec_lo, s1
	s_delay_alu instid0(VALU_DEP_1)
	v_readfirstlane_b32 s1, v2
	s_cmp_eq_u32 s1, 0
	s_cbranch_scc1 .LBB1_212
; %bb.211:                              ;   in Loop: Header=BB1_213 Depth=1
	s_sleep 1
	s_cbranch_execnz .LBB1_213
	s_branch .LBB1_216
.LBB1_212:
	s_branch .LBB1_216
.LBB1_213:                              ; =>This Inner Loop Header: Depth=1
	v_mov_b32_e32 v2, 1
	s_and_saveexec_b32 s1, s0
	s_cbranch_execz .LBB1_210
; %bb.214:                              ;   in Loop: Header=BB1_213 Depth=1
	global_load_b32 v2, v[10:11], off offset:20 scope:SCOPE_SYS
	s_wait_loadcnt 0x0
	global_inv scope:SCOPE_SYS
	v_and_b32_e32 v2, 1, v2
	s_branch .LBB1_210
.LBB1_215:
	s_branch .LBB1_249
.LBB1_216:
	global_load_b64 v[0:1], v[0:1], off
	s_wait_xcnt 0x0
	s_and_saveexec_b32 s6, s0
	s_cbranch_execz .LBB1_220
; %bb.217:
	v_mov_b32_e32 v10, 0
	s_clause 0x2
	global_load_b64 v[2:3], v10, s[2:3] offset:40
	global_load_b64 v[14:15], v10, s[2:3] offset:24 scope:SCOPE_SYS
	global_load_b64 v[6:7], v10, s[2:3]
	s_wait_loadcnt 0x2
	v_readfirstlane_b32 s10, v2
	v_readfirstlane_b32 s11, v3
	s_add_nc_u64 s[0:1], s[10:11], 1
	s_delay_alu instid0(SALU_CYCLE_1) | instskip(NEXT) | instid1(SALU_CYCLE_1)
	s_add_nc_u64 s[4:5], s[0:1], s[4:5]
	s_cmp_eq_u64 s[4:5], 0
	s_cselect_b32 s1, s1, s5
	s_cselect_b32 s0, s0, s4
	v_mov_b32_e32 v13, s1
	s_and_b64 s[4:5], s[0:1], s[10:11]
	v_mov_b32_e32 v12, s0
	s_mul_u64 s[4:5], s[4:5], 24
	s_wait_loadcnt 0x0
	v_add_nc_u64_e32 v[2:3], s[4:5], v[6:7]
	global_store_b64 v[2:3], v[14:15], off
	global_wb scope:SCOPE_SYS
	s_wait_storecnt 0x0
	s_wait_xcnt 0x0
	global_atomic_cmpswap_b64 v[8:9], v10, v[12:15], s[2:3] offset:24 th:TH_ATOMIC_RETURN scope:SCOPE_SYS
	s_wait_loadcnt 0x0
	v_cmp_ne_u64_e32 vcc_lo, v[8:9], v[14:15]
	s_and_b32 exec_lo, exec_lo, vcc_lo
	s_cbranch_execz .LBB1_220
; %bb.218:
	s_mov_b32 s4, 0
.LBB1_219:                              ; =>This Inner Loop Header: Depth=1
	v_dual_mov_b32 v6, s0 :: v_dual_mov_b32 v7, s1
	s_sleep 1
	global_store_b64 v[2:3], v[8:9], off
	global_wb scope:SCOPE_SYS
	s_wait_storecnt 0x0
	s_wait_xcnt 0x0
	global_atomic_cmpswap_b64 v[6:7], v10, v[6:9], s[2:3] offset:24 th:TH_ATOMIC_RETURN scope:SCOPE_SYS
	s_wait_loadcnt 0x0
	v_cmp_eq_u64_e32 vcc_lo, v[6:7], v[8:9]
	v_mov_b64_e32 v[8:9], v[6:7]
	s_or_b32 s4, vcc_lo, s4
	s_delay_alu instid0(SALU_CYCLE_1)
	s_and_not1_b32 exec_lo, exec_lo, s4
	s_cbranch_execnz .LBB1_219
.LBB1_220:
	s_or_b32 exec_lo, exec_lo, s6
	s_get_pc_i64 s[4:5]
	s_add_nc_u64 s[4:5], s[4:5], .str.4@rel64+4
	s_delay_alu instid0(SALU_CYCLE_1)
	s_cmp_lg_u64 s[4:5], 0
	s_cbranch_scc1 .LBB1_115
.LBB1_221:
                                        ; implicit-def: $vgpr6_vgpr7
	s_cbranch_execz .LBB1_249
; %bb.222:
	v_readfirstlane_b32 s0, v48
	v_mov_b64_e32 v[2:3], 0
	s_delay_alu instid0(VALU_DEP_2)
	v_cmp_eq_u32_e64 s0, s0, v48
	s_and_saveexec_b32 s1, s0
	s_cbranch_execz .LBB1_228
; %bb.223:
	s_wait_loadcnt 0x0
	v_mov_b32_e32 v6, 0
	s_mov_b32 s4, exec_lo
	global_load_b64 v[10:11], v6, s[2:3] offset:24 scope:SCOPE_SYS
	s_wait_loadcnt 0x0
	global_inv scope:SCOPE_SYS
	s_clause 0x1
	global_load_b64 v[2:3], v6, s[2:3] offset:40
	global_load_b64 v[8:9], v6, s[2:3]
	s_wait_loadcnt 0x1
	v_and_b32_e32 v2, v2, v10
	v_and_b32_e32 v3, v3, v11
	s_delay_alu instid0(VALU_DEP_1) | instskip(SKIP_1) | instid1(VALU_DEP_1)
	v_mul_u64_e32 v[2:3], 24, v[2:3]
	s_wait_loadcnt 0x0
	v_add_nc_u64_e32 v[2:3], v[8:9], v[2:3]
	global_load_b64 v[8:9], v[2:3], off scope:SCOPE_SYS
	s_wait_xcnt 0x0
	s_wait_loadcnt 0x0
	global_atomic_cmpswap_b64 v[2:3], v6, v[8:11], s[2:3] offset:24 th:TH_ATOMIC_RETURN scope:SCOPE_SYS
	s_wait_loadcnt 0x0
	global_inv scope:SCOPE_SYS
	s_wait_xcnt 0x0
	v_cmpx_ne_u64_e64 v[2:3], v[10:11]
	s_cbranch_execz .LBB1_227
; %bb.224:
	s_mov_b32 s5, 0
.LBB1_225:                              ; =>This Inner Loop Header: Depth=1
	s_sleep 1
	s_clause 0x1
	global_load_b64 v[8:9], v6, s[2:3] offset:40
	global_load_b64 v[12:13], v6, s[2:3]
	v_mov_b64_e32 v[10:11], v[2:3]
	s_wait_loadcnt 0x1
	s_delay_alu instid0(VALU_DEP_1) | instskip(NEXT) | instid1(VALU_DEP_2)
	v_and_b32_e32 v2, v8, v10
	v_and_b32_e32 v7, v9, v11
	s_wait_loadcnt 0x0
	s_delay_alu instid0(VALU_DEP_2) | instskip(NEXT) | instid1(VALU_DEP_1)
	v_mad_nc_u64_u32 v[2:3], v2, 24, v[12:13]
	v_mad_u32 v3, v7, 24, v3
	global_load_b64 v[8:9], v[2:3], off scope:SCOPE_SYS
	s_wait_xcnt 0x0
	s_wait_loadcnt 0x0
	global_atomic_cmpswap_b64 v[2:3], v6, v[8:11], s[2:3] offset:24 th:TH_ATOMIC_RETURN scope:SCOPE_SYS
	s_wait_loadcnt 0x0
	global_inv scope:SCOPE_SYS
	v_cmp_eq_u64_e32 vcc_lo, v[2:3], v[10:11]
	s_or_b32 s5, vcc_lo, s5
	s_wait_xcnt 0x0
	s_and_not1_b32 exec_lo, exec_lo, s5
	s_cbranch_execnz .LBB1_225
; %bb.226:
	s_or_b32 exec_lo, exec_lo, s5
.LBB1_227:
	s_delay_alu instid0(SALU_CYCLE_1)
	s_or_b32 exec_lo, exec_lo, s4
.LBB1_228:
	s_delay_alu instid0(SALU_CYCLE_1)
	s_or_b32 exec_lo, exec_lo, s1
	v_readfirstlane_b32 s4, v2
	v_mov_b32_e32 v31, 0
	v_readfirstlane_b32 s5, v3
	s_mov_b32 s1, exec_lo
	global_load_b64 v[10:11], v31, s[2:3] offset:40
	s_wait_loadcnt 0x1
	global_load_b128 v[6:9], v31, s[2:3]
	s_wait_loadcnt 0x1
	v_and_b32_e32 v2, s4, v10
	v_and_b32_e32 v3, s5, v11
	s_delay_alu instid0(VALU_DEP_1) | instskip(SKIP_1) | instid1(VALU_DEP_1)
	v_mul_u64_e32 v[10:11], 24, v[2:3]
	s_wait_loadcnt 0x0
	v_add_nc_u64_e32 v[10:11], v[6:7], v[10:11]
	s_wait_xcnt 0x0
	s_and_saveexec_b32 s6, s0
	s_cbranch_execz .LBB1_230
; %bb.229:
	v_mov_b64_e32 v[14:15], 0x100000002
	v_dual_mov_b32 v12, s1 :: v_dual_mov_b32 v13, v31
	global_store_b128 v[10:11], v[12:15], off offset:8
.LBB1_230:
	s_wait_xcnt 0x0
	s_or_b32 exec_lo, exec_lo, s6
	v_lshlrev_b64_e32 v[2:3], 12, v[2:3]
	s_mov_b32 s12, 0
	v_and_or_b32 v0, 0xffffff1f, v0, 32
	s_mov_b32 s13, s12
	s_mov_b32 s14, s12
	;; [unrolled: 1-line block ×3, first 2 shown]
	v_mov_b64_e32 v[12:13], s[12:13]
	v_add_nc_u64_e32 v[8:9], v[8:9], v[2:3]
	v_mov_b64_e32 v[14:15], s[14:15]
	v_dual_mov_b32 v2, v31 :: v_dual_mov_b32 v3, v31
	s_delay_alu instid0(VALU_DEP_3) | instskip(NEXT) | instid1(VALU_DEP_4)
	v_readfirstlane_b32 s6, v8
	v_readfirstlane_b32 s7, v9
	s_clause 0x3
	global_store_b128 v30, v[0:3], s[6:7]
	global_store_b128 v30, v[12:15], s[6:7] offset:16
	global_store_b128 v30, v[12:15], s[6:7] offset:32
	;; [unrolled: 1-line block ×3, first 2 shown]
	s_wait_xcnt 0x0
	s_and_saveexec_b32 s1, s0
	s_cbranch_execz .LBB1_238
; %bb.231:
	v_dual_mov_b32 v12, 0 :: v_dual_mov_b32 v15, s5
	s_mov_b32 s6, exec_lo
	s_clause 0x1
	global_load_b64 v[16:17], v12, s[2:3] offset:32 scope:SCOPE_SYS
	global_load_b64 v[0:1], v12, s[2:3] offset:40
	s_wait_loadcnt 0x0
	v_dual_mov_b32 v14, s4 :: v_dual_bitop2_b32 v1, s5, v1 bitop3:0x40
	v_and_b32_e32 v0, s4, v0
	s_delay_alu instid0(VALU_DEP_1) | instskip(NEXT) | instid1(VALU_DEP_1)
	v_mul_u64_e32 v[0:1], 24, v[0:1]
	v_add_nc_u64_e32 v[6:7], v[6:7], v[0:1]
	global_store_b64 v[6:7], v[16:17], off
	global_wb scope:SCOPE_SYS
	s_wait_storecnt 0x0
	s_wait_xcnt 0x0
	global_atomic_cmpswap_b64 v[2:3], v12, v[14:17], s[2:3] offset:32 th:TH_ATOMIC_RETURN scope:SCOPE_SYS
	s_wait_loadcnt 0x0
	v_cmpx_ne_u64_e64 v[2:3], v[16:17]
	s_cbranch_execz .LBB1_234
; %bb.232:
	s_mov_b32 s7, 0
.LBB1_233:                              ; =>This Inner Loop Header: Depth=1
	v_dual_mov_b32 v0, s4 :: v_dual_mov_b32 v1, s5
	s_sleep 1
	global_store_b64 v[6:7], v[2:3], off
	global_wb scope:SCOPE_SYS
	s_wait_storecnt 0x0
	s_wait_xcnt 0x0
	global_atomic_cmpswap_b64 v[0:1], v12, v[0:3], s[2:3] offset:32 th:TH_ATOMIC_RETURN scope:SCOPE_SYS
	s_wait_loadcnt 0x0
	v_cmp_eq_u64_e32 vcc_lo, v[0:1], v[2:3]
	v_mov_b64_e32 v[2:3], v[0:1]
	s_or_b32 s7, vcc_lo, s7
	s_delay_alu instid0(SALU_CYCLE_1)
	s_and_not1_b32 exec_lo, exec_lo, s7
	s_cbranch_execnz .LBB1_233
.LBB1_234:
	s_or_b32 exec_lo, exec_lo, s6
	v_mov_b32_e32 v3, 0
	s_mov_b32 s7, exec_lo
	s_mov_b32 s6, exec_lo
	v_mbcnt_lo_u32_b32 v2, s7, 0
	global_load_b64 v[0:1], v3, s[2:3] offset:16
	s_wait_xcnt 0x0
	v_cmpx_eq_u32_e32 0, v2
	s_cbranch_execz .LBB1_236
; %bb.235:
	s_bcnt1_i32_b32 s7, s7
	s_delay_alu instid0(SALU_CYCLE_1)
	v_mov_b32_e32 v2, s7
	global_wb scope:SCOPE_SYS
	s_wait_loadcnt 0x0
	s_wait_storecnt 0x0
	global_atomic_add_u64 v[0:1], v[2:3], off offset:8 scope:SCOPE_SYS
.LBB1_236:
	s_wait_xcnt 0x0
	s_or_b32 exec_lo, exec_lo, s6
	s_wait_loadcnt 0x0
	global_load_b64 v[2:3], v[0:1], off offset:16
	s_wait_loadcnt 0x0
	v_cmp_eq_u64_e32 vcc_lo, 0, v[2:3]
	s_cbranch_vccnz .LBB1_238
; %bb.237:
	global_load_b32 v0, v[0:1], off offset:24
	s_wait_xcnt 0x0
	v_mov_b32_e32 v1, 0
	s_wait_loadcnt 0x0
	v_readfirstlane_b32 s6, v0
	global_wb scope:SCOPE_SYS
	s_wait_storecnt 0x0
	global_store_b64 v[2:3], v[0:1], off scope:SCOPE_SYS
	s_and_b32 m0, s6, 0xffffff
	s_sendmsg sendmsg(MSG_INTERRUPT)
.LBB1_238:
	s_wait_xcnt 0x0
	s_or_b32 exec_lo, exec_lo, s1
	v_add_nc_u64_e32 v[0:1], v[8:9], v[30:31]
	s_branch .LBB1_242
.LBB1_239:                              ;   in Loop: Header=BB1_242 Depth=1
	s_wait_xcnt 0x0
	s_or_b32 exec_lo, exec_lo, s1
	s_delay_alu instid0(VALU_DEP_1)
	v_readfirstlane_b32 s1, v2
	s_cmp_eq_u32 s1, 0
	s_cbranch_scc1 .LBB1_241
; %bb.240:                              ;   in Loop: Header=BB1_242 Depth=1
	s_sleep 1
	s_cbranch_execnz .LBB1_242
	s_branch .LBB1_244
.LBB1_241:
	s_branch .LBB1_244
.LBB1_242:                              ; =>This Inner Loop Header: Depth=1
	v_mov_b32_e32 v2, 1
	s_and_saveexec_b32 s1, s0
	s_cbranch_execz .LBB1_239
; %bb.243:                              ;   in Loop: Header=BB1_242 Depth=1
	global_load_b32 v2, v[10:11], off offset:20 scope:SCOPE_SYS
	s_wait_loadcnt 0x0
	global_inv scope:SCOPE_SYS
	v_and_b32_e32 v2, 1, v2
	s_branch .LBB1_239
.LBB1_244:
	global_load_b64 v[6:7], v[0:1], off
	s_wait_xcnt 0x0
	s_and_saveexec_b32 s6, s0
	s_cbranch_execz .LBB1_248
; %bb.245:
	v_mov_b32_e32 v10, 0
	s_clause 0x2
	global_load_b64 v[0:1], v10, s[2:3] offset:40
	global_load_b64 v[14:15], v10, s[2:3] offset:24 scope:SCOPE_SYS
	global_load_b64 v[2:3], v10, s[2:3]
	s_wait_loadcnt 0x2
	v_readfirstlane_b32 s10, v0
	v_readfirstlane_b32 s11, v1
	s_add_nc_u64 s[0:1], s[10:11], 1
	s_delay_alu instid0(SALU_CYCLE_1) | instskip(NEXT) | instid1(SALU_CYCLE_1)
	s_add_nc_u64 s[4:5], s[0:1], s[4:5]
	s_cmp_eq_u64 s[4:5], 0
	s_cselect_b32 s1, s1, s5
	s_cselect_b32 s0, s0, s4
	v_mov_b32_e32 v13, s1
	s_and_b64 s[4:5], s[0:1], s[10:11]
	v_mov_b32_e32 v12, s0
	s_mul_u64 s[4:5], s[4:5], 24
	s_wait_loadcnt 0x0
	v_add_nc_u64_e32 v[8:9], s[4:5], v[2:3]
	global_store_b64 v[8:9], v[14:15], off
	global_wb scope:SCOPE_SYS
	s_wait_storecnt 0x0
	s_wait_xcnt 0x0
	global_atomic_cmpswap_b64 v[2:3], v10, v[12:15], s[2:3] offset:24 th:TH_ATOMIC_RETURN scope:SCOPE_SYS
	s_wait_loadcnt 0x0
	v_cmp_ne_u64_e32 vcc_lo, v[2:3], v[14:15]
	s_and_b32 exec_lo, exec_lo, vcc_lo
	s_cbranch_execz .LBB1_248
; %bb.246:
	s_mov_b32 s4, 0
.LBB1_247:                              ; =>This Inner Loop Header: Depth=1
	v_dual_mov_b32 v0, s0 :: v_dual_mov_b32 v1, s1
	s_sleep 1
	global_store_b64 v[8:9], v[2:3], off
	global_wb scope:SCOPE_SYS
	s_wait_storecnt 0x0
	s_wait_xcnt 0x0
	global_atomic_cmpswap_b64 v[0:1], v10, v[0:3], s[2:3] offset:24 th:TH_ATOMIC_RETURN scope:SCOPE_SYS
	s_wait_loadcnt 0x0
	v_cmp_eq_u64_e32 vcc_lo, v[0:1], v[2:3]
	v_mov_b64_e32 v[2:3], v[0:1]
	s_or_b32 s4, vcc_lo, s4
	s_delay_alu instid0(SALU_CYCLE_1)
	s_and_not1_b32 exec_lo, exec_lo, s4
	s_cbranch_execnz .LBB1_247
.LBB1_248:
	s_or_b32 exec_lo, exec_lo, s6
.LBB1_249:
	v_readfirstlane_b32 s0, v48
	v_mov_b64_e32 v[8:9], 0
	s_delay_alu instid0(VALU_DEP_2)
	v_cmp_eq_u32_e64 s0, s0, v48
	s_and_saveexec_b32 s1, s0
	s_cbranch_execz .LBB1_255
; %bb.250:
	s_wait_loadcnt 0x0
	v_mov_b32_e32 v0, 0
	s_mov_b32 s4, exec_lo
	global_load_b64 v[10:11], v0, s[2:3] offset:24 scope:SCOPE_SYS
	s_wait_loadcnt 0x0
	global_inv scope:SCOPE_SYS
	s_clause 0x1
	global_load_b64 v[2:3], v0, s[2:3] offset:40
	global_load_b64 v[8:9], v0, s[2:3]
	s_wait_loadcnt 0x1
	v_and_b32_e32 v2, v2, v10
	v_and_b32_e32 v3, v3, v11
	s_delay_alu instid0(VALU_DEP_1) | instskip(SKIP_1) | instid1(VALU_DEP_1)
	v_mul_u64_e32 v[2:3], 24, v[2:3]
	s_wait_loadcnt 0x0
	v_add_nc_u64_e32 v[2:3], v[8:9], v[2:3]
	global_load_b64 v[8:9], v[2:3], off scope:SCOPE_SYS
	s_wait_xcnt 0x0
	s_wait_loadcnt 0x0
	global_atomic_cmpswap_b64 v[8:9], v0, v[8:11], s[2:3] offset:24 th:TH_ATOMIC_RETURN scope:SCOPE_SYS
	s_wait_loadcnt 0x0
	global_inv scope:SCOPE_SYS
	s_wait_xcnt 0x0
	v_cmpx_ne_u64_e64 v[8:9], v[10:11]
	s_cbranch_execz .LBB1_254
; %bb.251:
	s_mov_b32 s5, 0
.LBB1_252:                              ; =>This Inner Loop Header: Depth=1
	s_sleep 1
	s_clause 0x1
	global_load_b64 v[2:3], v0, s[2:3] offset:40
	global_load_b64 v[12:13], v0, s[2:3]
	v_mov_b64_e32 v[10:11], v[8:9]
	s_wait_loadcnt 0x1
	s_delay_alu instid0(VALU_DEP_1) | instskip(SKIP_1) | instid1(VALU_DEP_1)
	v_and_b32_e32 v1, v2, v10
	s_wait_loadcnt 0x0
	v_mad_nc_u64_u32 v[8:9], v1, 24, v[12:13]
	s_delay_alu instid0(VALU_DEP_3) | instskip(NEXT) | instid1(VALU_DEP_1)
	v_and_b32_e32 v1, v3, v11
	v_mad_u32 v9, v1, 24, v9
	global_load_b64 v[8:9], v[8:9], off scope:SCOPE_SYS
	s_wait_xcnt 0x0
	s_wait_loadcnt 0x0
	global_atomic_cmpswap_b64 v[8:9], v0, v[8:11], s[2:3] offset:24 th:TH_ATOMIC_RETURN scope:SCOPE_SYS
	s_wait_loadcnt 0x0
	global_inv scope:SCOPE_SYS
	v_cmp_eq_u64_e32 vcc_lo, v[8:9], v[10:11]
	s_or_b32 s5, vcc_lo, s5
	s_wait_xcnt 0x0
	s_and_not1_b32 exec_lo, exec_lo, s5
	s_cbranch_execnz .LBB1_252
; %bb.253:
	s_or_b32 exec_lo, exec_lo, s5
.LBB1_254:
	s_delay_alu instid0(SALU_CYCLE_1)
	s_or_b32 exec_lo, exec_lo, s4
.LBB1_255:
	s_delay_alu instid0(SALU_CYCLE_1)
	s_or_b32 exec_lo, exec_lo, s1
	v_readfirstlane_b32 s4, v8
	v_mov_b32_e32 v31, 0
	v_readfirstlane_b32 s5, v9
	s_mov_b32 s1, exec_lo
	global_load_b64 v[10:11], v31, s[2:3] offset:40
	s_wait_loadcnt 0x1
	global_load_b128 v[0:3], v31, s[2:3]
	s_wait_loadcnt 0x1
	v_and_b32_e32 v8, s4, v10
	v_and_b32_e32 v9, s5, v11
	s_delay_alu instid0(VALU_DEP_1) | instskip(SKIP_1) | instid1(VALU_DEP_1)
	v_mul_u64_e32 v[10:11], 24, v[8:9]
	s_wait_loadcnt 0x0
	v_add_nc_u64_e32 v[10:11], v[0:1], v[10:11]
	s_wait_xcnt 0x0
	s_and_saveexec_b32 s6, s0
	s_cbranch_execz .LBB1_257
; %bb.256:
	v_mov_b64_e32 v[14:15], 0x100000002
	v_dual_mov_b32 v12, s1 :: v_dual_mov_b32 v13, v31
	global_store_b128 v[10:11], v[12:15], off offset:8
.LBB1_257:
	s_wait_xcnt 0x0
	s_or_b32 exec_lo, exec_lo, s6
	v_lshlrev_b64_e32 v[8:9], 12, v[8:9]
	s_mov_b32 s12, 0
	v_and_or_b32 v6, 0xffffff1f, v6, 32
	s_mov_b32 s14, s12
	s_mov_b32 s15, s12
	s_mov_b32 s13, s12
	v_mov_b64_e32 v[16:17], s[14:15]
	v_add_nc_u64_e32 v[12:13], v[2:3], v[8:9]
	v_mov_b64_e32 v[14:15], s[12:13]
	v_dual_mov_b32 v8, 0x331 :: v_dual_mov_b32 v9, v31
	s_delay_alu instid0(VALU_DEP_3) | instskip(NEXT) | instid1(VALU_DEP_4)
	v_readfirstlane_b32 s6, v12
	v_readfirstlane_b32 s7, v13
	s_clause 0x3
	global_store_b128 v30, v[6:9], s[6:7]
	global_store_b128 v30, v[14:17], s[6:7] offset:16
	global_store_b128 v30, v[14:17], s[6:7] offset:32
	;; [unrolled: 1-line block ×3, first 2 shown]
	s_wait_xcnt 0x0
	s_and_saveexec_b32 s1, s0
	s_cbranch_execz .LBB1_265
; %bb.258:
	v_dual_mov_b32 v8, 0 :: v_dual_mov_b32 v15, s5
	s_mov_b32 s6, exec_lo
	s_clause 0x1
	global_load_b64 v[16:17], v8, s[2:3] offset:32 scope:SCOPE_SYS
	global_load_b64 v[2:3], v8, s[2:3] offset:40
	s_wait_loadcnt 0x0
	v_dual_mov_b32 v14, s4 :: v_dual_bitop2_b32 v3, s5, v3 bitop3:0x40
	v_and_b32_e32 v2, s4, v2
	s_delay_alu instid0(VALU_DEP_1) | instskip(NEXT) | instid1(VALU_DEP_1)
	v_mul_u64_e32 v[2:3], 24, v[2:3]
	v_add_nc_u64_e32 v[6:7], v[0:1], v[2:3]
	global_store_b64 v[6:7], v[16:17], off
	global_wb scope:SCOPE_SYS
	s_wait_storecnt 0x0
	s_wait_xcnt 0x0
	global_atomic_cmpswap_b64 v[2:3], v8, v[14:17], s[2:3] offset:32 th:TH_ATOMIC_RETURN scope:SCOPE_SYS
	s_wait_loadcnt 0x0
	v_cmpx_ne_u64_e64 v[2:3], v[16:17]
	s_cbranch_execz .LBB1_261
; %bb.259:
	s_mov_b32 s7, 0
.LBB1_260:                              ; =>This Inner Loop Header: Depth=1
	v_dual_mov_b32 v0, s4 :: v_dual_mov_b32 v1, s5
	s_sleep 1
	global_store_b64 v[6:7], v[2:3], off
	global_wb scope:SCOPE_SYS
	s_wait_storecnt 0x0
	s_wait_xcnt 0x0
	global_atomic_cmpswap_b64 v[0:1], v8, v[0:3], s[2:3] offset:32 th:TH_ATOMIC_RETURN scope:SCOPE_SYS
	s_wait_loadcnt 0x0
	v_cmp_eq_u64_e32 vcc_lo, v[0:1], v[2:3]
	v_mov_b64_e32 v[2:3], v[0:1]
	s_or_b32 s7, vcc_lo, s7
	s_delay_alu instid0(SALU_CYCLE_1)
	s_and_not1_b32 exec_lo, exec_lo, s7
	s_cbranch_execnz .LBB1_260
.LBB1_261:
	s_or_b32 exec_lo, exec_lo, s6
	v_mov_b32_e32 v3, 0
	s_mov_b32 s7, exec_lo
	s_mov_b32 s6, exec_lo
	v_mbcnt_lo_u32_b32 v2, s7, 0
	global_load_b64 v[0:1], v3, s[2:3] offset:16
	s_wait_xcnt 0x0
	v_cmpx_eq_u32_e32 0, v2
	s_cbranch_execz .LBB1_263
; %bb.262:
	s_bcnt1_i32_b32 s7, s7
	s_delay_alu instid0(SALU_CYCLE_1)
	v_mov_b32_e32 v2, s7
	global_wb scope:SCOPE_SYS
	s_wait_loadcnt 0x0
	s_wait_storecnt 0x0
	global_atomic_add_u64 v[0:1], v[2:3], off offset:8 scope:SCOPE_SYS
.LBB1_263:
	s_wait_xcnt 0x0
	s_or_b32 exec_lo, exec_lo, s6
	s_wait_loadcnt 0x0
	global_load_b64 v[2:3], v[0:1], off offset:16
	s_wait_loadcnt 0x0
	v_cmp_eq_u64_e32 vcc_lo, 0, v[2:3]
	s_cbranch_vccnz .LBB1_265
; %bb.264:
	global_load_b32 v0, v[0:1], off offset:24
	s_wait_xcnt 0x0
	v_mov_b32_e32 v1, 0
	s_wait_loadcnt 0x0
	v_readfirstlane_b32 s6, v0
	global_wb scope:SCOPE_SYS
	s_wait_storecnt 0x0
	global_store_b64 v[2:3], v[0:1], off scope:SCOPE_SYS
	s_and_b32 m0, s6, 0xffffff
	s_sendmsg sendmsg(MSG_INTERRUPT)
.LBB1_265:
	s_wait_xcnt 0x0
	s_or_b32 exec_lo, exec_lo, s1
	v_add_nc_u64_e32 v[0:1], v[12:13], v[30:31]
	s_branch .LBB1_269
.LBB1_266:                              ;   in Loop: Header=BB1_269 Depth=1
	s_wait_xcnt 0x0
	s_or_b32 exec_lo, exec_lo, s1
	s_delay_alu instid0(VALU_DEP_1)
	v_readfirstlane_b32 s1, v2
	s_cmp_eq_u32 s1, 0
	s_cbranch_scc1 .LBB1_268
; %bb.267:                              ;   in Loop: Header=BB1_269 Depth=1
	s_sleep 1
	s_cbranch_execnz .LBB1_269
	s_branch .LBB1_271
.LBB1_268:
	s_branch .LBB1_271
.LBB1_269:                              ; =>This Inner Loop Header: Depth=1
	v_mov_b32_e32 v2, 1
	s_and_saveexec_b32 s1, s0
	s_cbranch_execz .LBB1_266
; %bb.270:                              ;   in Loop: Header=BB1_269 Depth=1
	global_load_b32 v2, v[10:11], off offset:20 scope:SCOPE_SYS
	s_wait_loadcnt 0x0
	global_inv scope:SCOPE_SYS
	v_and_b32_e32 v2, 1, v2
	s_branch .LBB1_266
.LBB1_271:
	global_load_b64 v[0:1], v[0:1], off
	s_wait_xcnt 0x0
	s_and_saveexec_b32 s6, s0
	s_cbranch_execz .LBB1_275
; %bb.272:
	v_mov_b32_e32 v10, 0
	s_clause 0x2
	global_load_b64 v[2:3], v10, s[2:3] offset:40
	global_load_b64 v[14:15], v10, s[2:3] offset:24 scope:SCOPE_SYS
	global_load_b64 v[6:7], v10, s[2:3]
	s_wait_loadcnt 0x2
	v_readfirstlane_b32 s10, v2
	v_readfirstlane_b32 s11, v3
	s_add_nc_u64 s[0:1], s[10:11], 1
	s_delay_alu instid0(SALU_CYCLE_1) | instskip(NEXT) | instid1(SALU_CYCLE_1)
	s_add_nc_u64 s[4:5], s[0:1], s[4:5]
	s_cmp_eq_u64 s[4:5], 0
	s_cselect_b32 s1, s1, s5
	s_cselect_b32 s0, s0, s4
	v_mov_b32_e32 v13, s1
	s_and_b64 s[4:5], s[0:1], s[10:11]
	v_mov_b32_e32 v12, s0
	s_mul_u64 s[4:5], s[4:5], 24
	s_wait_loadcnt 0x0
	v_add_nc_u64_e32 v[2:3], s[4:5], v[6:7]
	global_store_b64 v[2:3], v[14:15], off
	global_wb scope:SCOPE_SYS
	s_wait_storecnt 0x0
	s_wait_xcnt 0x0
	global_atomic_cmpswap_b64 v[8:9], v10, v[12:15], s[2:3] offset:24 th:TH_ATOMIC_RETURN scope:SCOPE_SYS
	s_wait_loadcnt 0x0
	v_cmp_ne_u64_e32 vcc_lo, v[8:9], v[14:15]
	s_and_b32 exec_lo, exec_lo, vcc_lo
	s_cbranch_execz .LBB1_275
; %bb.273:
	s_mov_b32 s4, 0
.LBB1_274:                              ; =>This Inner Loop Header: Depth=1
	v_dual_mov_b32 v6, s0 :: v_dual_mov_b32 v7, s1
	s_sleep 1
	global_store_b64 v[2:3], v[8:9], off
	global_wb scope:SCOPE_SYS
	s_wait_storecnt 0x0
	s_wait_xcnt 0x0
	global_atomic_cmpswap_b64 v[6:7], v10, v[6:9], s[2:3] offset:24 th:TH_ATOMIC_RETURN scope:SCOPE_SYS
	s_wait_loadcnt 0x0
	v_cmp_eq_u64_e32 vcc_lo, v[6:7], v[8:9]
	v_mov_b64_e32 v[8:9], v[6:7]
	s_or_b32 s4, vcc_lo, s4
	s_delay_alu instid0(SALU_CYCLE_1)
	s_and_not1_b32 exec_lo, exec_lo, s4
	s_cbranch_execnz .LBB1_274
.LBB1_275:
	s_or_b32 exec_lo, exec_lo, s6
	v_mov_b64_e32 v[2:3], v[4:5]
	s_mov_b32 s0, 0
.LBB1_276:                              ; =>This Inner Loop Header: Depth=1
	global_load_u8 v6, v[2:3], off
	s_wait_xcnt 0x0
	v_add_nc_u64_e32 v[2:3], 1, v[2:3]
	s_wait_loadcnt 0x0
	v_cmp_eq_u16_e32 vcc_lo, 0, v6
	s_or_b32 s0, vcc_lo, s0
	s_delay_alu instid0(SALU_CYCLE_1)
	s_and_not1_b32 exec_lo, exec_lo, s0
	s_cbranch_execnz .LBB1_276
; %bb.277:
	s_or_b32 exec_lo, exec_lo, s0
	s_delay_alu instid0(SALU_CYCLE_1)
	s_mov_b32 s0, exec_lo
	v_cmpx_ne_u64_e32 0, v[4:5]
	s_xor_b32 s6, exec_lo, s0
	s_cbranch_execz .LBB1_363
; %bb.278:
	v_dual_mov_b32 v31, 0 :: v_dual_sub_nc_u32 v26, v2, v4
	v_mov_b64_e32 v[8:9], 0x100000002
	v_and_b32_e32 v28, 2, v0
	s_delay_alu instid0(VALU_DEP_3)
	v_dual_ashrrev_i32 v27, 31, v26 :: v_dual_bitop2_b32 v0, -3, v0 bitop3:0x40
	s_mov_b32 s10, 0
	s_mov_b32 s7, 0
	s_branch .LBB1_280
.LBB1_279:                              ;   in Loop: Header=BB1_280 Depth=1
	s_or_b32 exec_lo, exec_lo, s11
	v_sub_nc_u64_e32 v[26:27], v[26:27], v[32:33]
	v_add_nc_u64_e32 v[4:5], v[4:5], v[32:33]
	s_delay_alu instid0(VALU_DEP_2) | instskip(SKIP_1) | instid1(SALU_CYCLE_1)
	v_cmp_eq_u64_e32 vcc_lo, 0, v[26:27]
	s_or_b32 s7, vcc_lo, s7
	s_and_not1_b32 exec_lo, exec_lo, s7
	s_cbranch_execz .LBB1_362
.LBB1_280:                              ; =>This Loop Header: Depth=1
                                        ;     Child Loop BB1_283 Depth 2
                                        ;     Child Loop BB1_291 Depth 2
	;; [unrolled: 1-line block ×11, first 2 shown]
	s_delay_alu instid0(VALU_DEP_1) | instskip(NEXT) | instid1(VALU_DEP_3)
	v_min_u64 v[32:33], v[26:27], 56
	v_add_nc_u64_e32 v[12:13], 8, v[4:5]
	s_mov_b32 s0, exec_lo
	v_cmpx_gt_u64_e32 8, v[26:27]
	s_xor_b32 s4, exec_lo, s0
	s_cbranch_execz .LBB1_286
; %bb.281:                              ;   in Loop: Header=BB1_280 Depth=1
	v_mov_b64_e32 v[2:3], 0
	s_mov_b32 s5, exec_lo
	v_cmpx_ne_u64_e32 0, v[26:27]
	s_cbranch_execz .LBB1_285
; %bb.282:                              ;   in Loop: Header=BB1_280 Depth=1
	v_mov_b64_e32 v[2:3], 0
	v_mov_b64_e32 v[10:11], v[4:5]
	v_lshlrev_b32_e32 v6, 3, v32
	s_mov_b64 s[0:1], 0
	s_mov_b32 s11, 0
.LBB1_283:                              ;   Parent Loop BB1_280 Depth=1
                                        ; =>  This Inner Loop Header: Depth=2
	global_load_u8 v7, v[10:11], off
	v_mov_b32_e32 v13, s10
	s_wait_xcnt 0x0
	v_add_nc_u64_e32 v[10:11], 1, v[10:11]
	s_wait_loadcnt 0x0
	v_and_b32_e32 v12, 0xffff, v7
	s_delay_alu instid0(VALU_DEP_1) | instskip(SKIP_1) | instid1(SALU_CYCLE_1)
	v_lshlrev_b64_e32 v[12:13], s0, v[12:13]
	s_add_nc_u64 s[0:1], s[0:1], 8
	v_cmp_eq_u32_e32 vcc_lo, s0, v6
	s_delay_alu instid0(VALU_DEP_2) | instskip(NEXT) | instid1(VALU_DEP_3)
	v_or_b32_e32 v3, v13, v3
	v_or_b32_e32 v2, v12, v2
	s_or_b32 s11, vcc_lo, s11
	s_delay_alu instid0(SALU_CYCLE_1)
	s_and_not1_b32 exec_lo, exec_lo, s11
	s_cbranch_execnz .LBB1_283
; %bb.284:                              ;   in Loop: Header=BB1_280 Depth=1
	s_or_b32 exec_lo, exec_lo, s11
.LBB1_285:                              ;   in Loop: Header=BB1_280 Depth=1
	s_delay_alu instid0(SALU_CYCLE_1)
	s_or_b32 exec_lo, exec_lo, s5
	v_mov_b64_e32 v[12:13], v[4:5]
.LBB1_286:                              ;   in Loop: Header=BB1_280 Depth=1
	s_or_saveexec_b32 s0, s4
	v_mov_b32_e32 v14, 0
	s_xor_b32 exec_lo, exec_lo, s0
	s_cbranch_execz .LBB1_288
; %bb.287:                              ;   in Loop: Header=BB1_280 Depth=1
	global_load_b64 v[2:3], v[4:5], off
	v_add_nc_u32_e32 v14, -8, v32
.LBB1_288:                              ;   in Loop: Header=BB1_280 Depth=1
	s_wait_xcnt 0x0
	s_or_b32 exec_lo, exec_lo, s0
	v_add_nc_u64_e32 v[6:7], 8, v[12:13]
                                        ; implicit-def: $vgpr10_vgpr11
	s_mov_b32 s0, exec_lo
	v_cmpx_gt_u32_e32 8, v14
	s_xor_b32 s11, exec_lo, s0
	s_cbranch_execz .LBB1_294
; %bb.289:                              ;   in Loop: Header=BB1_280 Depth=1
	v_mov_b64_e32 v[10:11], 0
	s_mov_b32 s12, exec_lo
	v_cmpx_ne_u32_e32 0, v14
	s_cbranch_execz .LBB1_293
; %bb.290:                              ;   in Loop: Header=BB1_280 Depth=1
	v_mov_b64_e32 v[10:11], 0
	s_mov_b64 s[0:1], 0
	s_mov_b32 s13, 0
	s_mov_b64 s[4:5], 0
.LBB1_291:                              ;   Parent Loop BB1_280 Depth=1
                                        ; =>  This Inner Loop Header: Depth=2
	s_delay_alu instid0(SALU_CYCLE_1) | instskip(SKIP_1) | instid1(SALU_CYCLE_1)
	v_add_nc_u64_e32 v[6:7], s[4:5], v[12:13]
	s_add_nc_u64 s[4:5], s[4:5], 1
	v_cmp_eq_u32_e32 vcc_lo, s4, v14
	global_load_u8 v6, v[6:7], off
	s_wait_xcnt 0x0
	v_mov_b32_e32 v7, s10
	s_or_b32 s13, vcc_lo, s13
	s_wait_loadcnt 0x0
	v_and_b32_e32 v6, 0xffff, v6
	s_delay_alu instid0(VALU_DEP_1) | instskip(SKIP_1) | instid1(VALU_DEP_1)
	v_lshlrev_b64_e32 v[6:7], s0, v[6:7]
	s_add_nc_u64 s[0:1], s[0:1], 8
	v_or_b32_e32 v11, v7, v11
	s_delay_alu instid0(VALU_DEP_2)
	v_or_b32_e32 v10, v6, v10
	s_and_not1_b32 exec_lo, exec_lo, s13
	s_cbranch_execnz .LBB1_291
; %bb.292:                              ;   in Loop: Header=BB1_280 Depth=1
	s_or_b32 exec_lo, exec_lo, s13
.LBB1_293:                              ;   in Loop: Header=BB1_280 Depth=1
	s_delay_alu instid0(SALU_CYCLE_1)
	s_or_b32 exec_lo, exec_lo, s12
	v_mov_b64_e32 v[6:7], v[12:13]
                                        ; implicit-def: $vgpr14
.LBB1_294:                              ;   in Loop: Header=BB1_280 Depth=1
	s_or_saveexec_b32 s0, s11
	v_mov_b32_e32 v15, 0
	s_xor_b32 exec_lo, exec_lo, s0
	s_cbranch_execz .LBB1_296
; %bb.295:                              ;   in Loop: Header=BB1_280 Depth=1
	global_load_b64 v[10:11], v[12:13], off
	v_add_nc_u32_e32 v15, -8, v14
.LBB1_296:                              ;   in Loop: Header=BB1_280 Depth=1
	s_wait_xcnt 0x0
	s_or_b32 exec_lo, exec_lo, s0
	v_add_nc_u64_e32 v[16:17], 8, v[6:7]
	s_mov_b32 s0, exec_lo
	v_cmpx_gt_u32_e32 8, v15
	s_xor_b32 s11, exec_lo, s0
	s_cbranch_execz .LBB1_302
; %bb.297:                              ;   in Loop: Header=BB1_280 Depth=1
	v_mov_b64_e32 v[12:13], 0
	s_mov_b32 s12, exec_lo
	v_cmpx_ne_u32_e32 0, v15
	s_cbranch_execz .LBB1_301
; %bb.298:                              ;   in Loop: Header=BB1_280 Depth=1
	v_mov_b64_e32 v[12:13], 0
	s_mov_b64 s[0:1], 0
	s_mov_b32 s13, 0
	s_mov_b64 s[4:5], 0
.LBB1_299:                              ;   Parent Loop BB1_280 Depth=1
                                        ; =>  This Inner Loop Header: Depth=2
	s_delay_alu instid0(SALU_CYCLE_1) | instskip(SKIP_1) | instid1(SALU_CYCLE_1)
	v_add_nc_u64_e32 v[16:17], s[4:5], v[6:7]
	s_add_nc_u64 s[4:5], s[4:5], 1
	v_cmp_eq_u32_e32 vcc_lo, s4, v15
	global_load_u8 v14, v[16:17], off
	s_wait_xcnt 0x0
	v_mov_b32_e32 v17, s10
	s_or_b32 s13, vcc_lo, s13
	s_wait_loadcnt 0x0
	v_and_b32_e32 v16, 0xffff, v14
	s_delay_alu instid0(VALU_DEP_1) | instskip(SKIP_1) | instid1(VALU_DEP_1)
	v_lshlrev_b64_e32 v[16:17], s0, v[16:17]
	s_add_nc_u64 s[0:1], s[0:1], 8
	v_or_b32_e32 v13, v17, v13
	s_delay_alu instid0(VALU_DEP_2)
	v_or_b32_e32 v12, v16, v12
	s_and_not1_b32 exec_lo, exec_lo, s13
	s_cbranch_execnz .LBB1_299
; %bb.300:                              ;   in Loop: Header=BB1_280 Depth=1
	s_or_b32 exec_lo, exec_lo, s13
.LBB1_301:                              ;   in Loop: Header=BB1_280 Depth=1
	s_delay_alu instid0(SALU_CYCLE_1)
	s_or_b32 exec_lo, exec_lo, s12
	v_mov_b64_e32 v[16:17], v[6:7]
                                        ; implicit-def: $vgpr15
.LBB1_302:                              ;   in Loop: Header=BB1_280 Depth=1
	s_or_saveexec_b32 s0, s11
	v_mov_b32_e32 v18, 0
	s_xor_b32 exec_lo, exec_lo, s0
	s_cbranch_execz .LBB1_304
; %bb.303:                              ;   in Loop: Header=BB1_280 Depth=1
	global_load_b64 v[12:13], v[6:7], off
	v_add_nc_u32_e32 v18, -8, v15
.LBB1_304:                              ;   in Loop: Header=BB1_280 Depth=1
	s_wait_xcnt 0x0
	s_or_b32 exec_lo, exec_lo, s0
	v_add_nc_u64_e32 v[6:7], 8, v[16:17]
                                        ; implicit-def: $vgpr14_vgpr15
	s_mov_b32 s0, exec_lo
	v_cmpx_gt_u32_e32 8, v18
	s_xor_b32 s11, exec_lo, s0
	s_cbranch_execz .LBB1_310
; %bb.305:                              ;   in Loop: Header=BB1_280 Depth=1
	v_mov_b64_e32 v[14:15], 0
	s_mov_b32 s12, exec_lo
	v_cmpx_ne_u32_e32 0, v18
	s_cbranch_execz .LBB1_309
; %bb.306:                              ;   in Loop: Header=BB1_280 Depth=1
	v_mov_b64_e32 v[14:15], 0
	s_mov_b64 s[0:1], 0
	s_mov_b32 s13, 0
	s_mov_b64 s[4:5], 0
.LBB1_307:                              ;   Parent Loop BB1_280 Depth=1
                                        ; =>  This Inner Loop Header: Depth=2
	s_delay_alu instid0(SALU_CYCLE_1) | instskip(SKIP_1) | instid1(SALU_CYCLE_1)
	v_add_nc_u64_e32 v[6:7], s[4:5], v[16:17]
	s_add_nc_u64 s[4:5], s[4:5], 1
	v_cmp_eq_u32_e32 vcc_lo, s4, v18
	global_load_u8 v6, v[6:7], off
	s_wait_xcnt 0x0
	v_mov_b32_e32 v7, s10
	s_or_b32 s13, vcc_lo, s13
	s_wait_loadcnt 0x0
	v_and_b32_e32 v6, 0xffff, v6
	s_delay_alu instid0(VALU_DEP_1) | instskip(SKIP_1) | instid1(VALU_DEP_1)
	v_lshlrev_b64_e32 v[6:7], s0, v[6:7]
	s_add_nc_u64 s[0:1], s[0:1], 8
	v_or_b32_e32 v15, v7, v15
	s_delay_alu instid0(VALU_DEP_2)
	v_or_b32_e32 v14, v6, v14
	s_and_not1_b32 exec_lo, exec_lo, s13
	s_cbranch_execnz .LBB1_307
; %bb.308:                              ;   in Loop: Header=BB1_280 Depth=1
	s_or_b32 exec_lo, exec_lo, s13
.LBB1_309:                              ;   in Loop: Header=BB1_280 Depth=1
	s_delay_alu instid0(SALU_CYCLE_1)
	s_or_b32 exec_lo, exec_lo, s12
	v_mov_b64_e32 v[6:7], v[16:17]
                                        ; implicit-def: $vgpr18
.LBB1_310:                              ;   in Loop: Header=BB1_280 Depth=1
	s_or_saveexec_b32 s0, s11
	v_mov_b32_e32 v19, 0
	s_xor_b32 exec_lo, exec_lo, s0
	s_cbranch_execz .LBB1_312
; %bb.311:                              ;   in Loop: Header=BB1_280 Depth=1
	global_load_b64 v[14:15], v[16:17], off
	v_add_nc_u32_e32 v19, -8, v18
.LBB1_312:                              ;   in Loop: Header=BB1_280 Depth=1
	s_wait_xcnt 0x0
	s_or_b32 exec_lo, exec_lo, s0
	v_add_nc_u64_e32 v[20:21], 8, v[6:7]
	s_mov_b32 s0, exec_lo
	v_cmpx_gt_u32_e32 8, v19
	s_xor_b32 s11, exec_lo, s0
	s_cbranch_execz .LBB1_318
; %bb.313:                              ;   in Loop: Header=BB1_280 Depth=1
	v_mov_b64_e32 v[16:17], 0
	s_mov_b32 s12, exec_lo
	v_cmpx_ne_u32_e32 0, v19
	s_cbranch_execz .LBB1_317
; %bb.314:                              ;   in Loop: Header=BB1_280 Depth=1
	v_mov_b64_e32 v[16:17], 0
	s_mov_b64 s[0:1], 0
	s_mov_b32 s13, 0
	s_mov_b64 s[4:5], 0
.LBB1_315:                              ;   Parent Loop BB1_280 Depth=1
                                        ; =>  This Inner Loop Header: Depth=2
	s_delay_alu instid0(SALU_CYCLE_1) | instskip(SKIP_1) | instid1(SALU_CYCLE_1)
	v_add_nc_u64_e32 v[20:21], s[4:5], v[6:7]
	s_add_nc_u64 s[4:5], s[4:5], 1
	v_cmp_eq_u32_e32 vcc_lo, s4, v19
	global_load_u8 v18, v[20:21], off
	s_wait_xcnt 0x0
	v_mov_b32_e32 v21, s10
	s_or_b32 s13, vcc_lo, s13
	s_wait_loadcnt 0x0
	v_and_b32_e32 v20, 0xffff, v18
	s_delay_alu instid0(VALU_DEP_1) | instskip(SKIP_1) | instid1(VALU_DEP_1)
	v_lshlrev_b64_e32 v[20:21], s0, v[20:21]
	s_add_nc_u64 s[0:1], s[0:1], 8
	v_or_b32_e32 v17, v21, v17
	s_delay_alu instid0(VALU_DEP_2)
	v_or_b32_e32 v16, v20, v16
	s_and_not1_b32 exec_lo, exec_lo, s13
	s_cbranch_execnz .LBB1_315
; %bb.316:                              ;   in Loop: Header=BB1_280 Depth=1
	s_or_b32 exec_lo, exec_lo, s13
.LBB1_317:                              ;   in Loop: Header=BB1_280 Depth=1
	s_delay_alu instid0(SALU_CYCLE_1)
	s_or_b32 exec_lo, exec_lo, s12
	v_mov_b64_e32 v[20:21], v[6:7]
                                        ; implicit-def: $vgpr19
.LBB1_318:                              ;   in Loop: Header=BB1_280 Depth=1
	s_or_saveexec_b32 s0, s11
	v_mov_b32_e32 v22, 0
	s_xor_b32 exec_lo, exec_lo, s0
	s_cbranch_execz .LBB1_320
; %bb.319:                              ;   in Loop: Header=BB1_280 Depth=1
	global_load_b64 v[16:17], v[6:7], off
	v_add_nc_u32_e32 v22, -8, v19
.LBB1_320:                              ;   in Loop: Header=BB1_280 Depth=1
	s_wait_xcnt 0x0
	s_or_b32 exec_lo, exec_lo, s0
	v_add_nc_u64_e32 v[6:7], 8, v[20:21]
                                        ; implicit-def: $vgpr18_vgpr19
	s_mov_b32 s0, exec_lo
	v_cmpx_gt_u32_e32 8, v22
	s_xor_b32 s11, exec_lo, s0
	s_cbranch_execz .LBB1_326
; %bb.321:                              ;   in Loop: Header=BB1_280 Depth=1
	v_mov_b64_e32 v[18:19], 0
	s_mov_b32 s12, exec_lo
	v_cmpx_ne_u32_e32 0, v22
	s_cbranch_execz .LBB1_325
; %bb.322:                              ;   in Loop: Header=BB1_280 Depth=1
	v_mov_b64_e32 v[18:19], 0
	s_mov_b64 s[0:1], 0
	s_mov_b32 s13, 0
	s_mov_b64 s[4:5], 0
.LBB1_323:                              ;   Parent Loop BB1_280 Depth=1
                                        ; =>  This Inner Loop Header: Depth=2
	s_delay_alu instid0(SALU_CYCLE_1) | instskip(SKIP_1) | instid1(SALU_CYCLE_1)
	v_add_nc_u64_e32 v[6:7], s[4:5], v[20:21]
	s_add_nc_u64 s[4:5], s[4:5], 1
	v_cmp_eq_u32_e32 vcc_lo, s4, v22
	global_load_u8 v6, v[6:7], off
	s_wait_xcnt 0x0
	v_mov_b32_e32 v7, s10
	s_or_b32 s13, vcc_lo, s13
	s_wait_loadcnt 0x0
	v_and_b32_e32 v6, 0xffff, v6
	s_delay_alu instid0(VALU_DEP_1) | instskip(SKIP_1) | instid1(VALU_DEP_1)
	v_lshlrev_b64_e32 v[6:7], s0, v[6:7]
	s_add_nc_u64 s[0:1], s[0:1], 8
	v_or_b32_e32 v19, v7, v19
	s_delay_alu instid0(VALU_DEP_2)
	v_or_b32_e32 v18, v6, v18
	s_and_not1_b32 exec_lo, exec_lo, s13
	s_cbranch_execnz .LBB1_323
; %bb.324:                              ;   in Loop: Header=BB1_280 Depth=1
	s_or_b32 exec_lo, exec_lo, s13
.LBB1_325:                              ;   in Loop: Header=BB1_280 Depth=1
	s_delay_alu instid0(SALU_CYCLE_1)
	s_or_b32 exec_lo, exec_lo, s12
	v_mov_b64_e32 v[6:7], v[20:21]
                                        ; implicit-def: $vgpr22
.LBB1_326:                              ;   in Loop: Header=BB1_280 Depth=1
	s_or_saveexec_b32 s0, s11
	v_mov_b32_e32 v23, 0
	s_xor_b32 exec_lo, exec_lo, s0
	s_cbranch_execz .LBB1_328
; %bb.327:                              ;   in Loop: Header=BB1_280 Depth=1
	global_load_b64 v[18:19], v[20:21], off
	v_add_nc_u32_e32 v23, -8, v22
.LBB1_328:                              ;   in Loop: Header=BB1_280 Depth=1
	s_wait_xcnt 0x0
	s_or_b32 exec_lo, exec_lo, s0
	s_delay_alu instid0(SALU_CYCLE_1) | instskip(NEXT) | instid1(VALU_DEP_1)
	s_mov_b32 s0, exec_lo
	v_cmpx_gt_u32_e32 8, v23
	s_xor_b32 s4, exec_lo, s0
	s_cbranch_execz .LBB1_334
; %bb.329:                              ;   in Loop: Header=BB1_280 Depth=1
	v_mov_b64_e32 v[20:21], 0
	s_mov_b32 s5, exec_lo
	v_cmpx_ne_u32_e32 0, v23
	s_cbranch_execz .LBB1_333
; %bb.330:                              ;   in Loop: Header=BB1_280 Depth=1
	v_mov_b64_e32 v[20:21], 0
	s_mov_b64 s[0:1], 0
	s_mov_b32 s11, 0
.LBB1_331:                              ;   Parent Loop BB1_280 Depth=1
                                        ; =>  This Inner Loop Header: Depth=2
	global_load_u8 v22, v[6:7], off
	v_dual_mov_b32 v25, s10 :: v_dual_add_nc_u32 v23, -1, v23
	s_wait_xcnt 0x0
	v_add_nc_u64_e32 v[6:7], 1, v[6:7]
	s_delay_alu instid0(VALU_DEP_2) | instskip(SKIP_3) | instid1(VALU_DEP_1)
	v_cmp_eq_u32_e32 vcc_lo, 0, v23
	s_or_b32 s11, vcc_lo, s11
	s_wait_loadcnt 0x0
	v_and_b32_e32 v24, 0xffff, v22
	v_lshlrev_b64_e32 v[24:25], s0, v[24:25]
	s_add_nc_u64 s[0:1], s[0:1], 8
	s_delay_alu instid0(VALU_DEP_1) | instskip(NEXT) | instid1(VALU_DEP_2)
	v_or_b32_e32 v21, v25, v21
	v_or_b32_e32 v20, v24, v20
	s_and_not1_b32 exec_lo, exec_lo, s11
	s_cbranch_execnz .LBB1_331
; %bb.332:                              ;   in Loop: Header=BB1_280 Depth=1
	s_or_b32 exec_lo, exec_lo, s11
.LBB1_333:                              ;   in Loop: Header=BB1_280 Depth=1
	s_delay_alu instid0(SALU_CYCLE_1)
	s_or_b32 exec_lo, exec_lo, s5
                                        ; implicit-def: $vgpr6_vgpr7
.LBB1_334:                              ;   in Loop: Header=BB1_280 Depth=1
	s_and_not1_saveexec_b32 s0, s4
	s_cbranch_execz .LBB1_336
; %bb.335:                              ;   in Loop: Header=BB1_280 Depth=1
	global_load_b64 v[20:21], v[6:7], off
.LBB1_336:                              ;   in Loop: Header=BB1_280 Depth=1
	s_wait_xcnt 0x0
	s_or_b32 exec_lo, exec_lo, s0
	v_readfirstlane_b32 s0, v48
	v_mov_b64_e32 v[6:7], 0
	s_delay_alu instid0(VALU_DEP_2)
	v_cmp_eq_u32_e64 s0, s0, v48
	s_and_saveexec_b32 s1, s0
	s_cbranch_execz .LBB1_342
; %bb.337:                              ;   in Loop: Header=BB1_280 Depth=1
	global_load_b64 v[24:25], v31, s[2:3] offset:24 scope:SCOPE_SYS
	s_wait_loadcnt 0x0
	global_inv scope:SCOPE_SYS
	s_clause 0x1
	global_load_b64 v[6:7], v31, s[2:3] offset:40
	global_load_b64 v[22:23], v31, s[2:3]
	s_mov_b32 s4, exec_lo
	s_wait_loadcnt 0x1
	v_and_b32_e32 v6, v6, v24
	v_and_b32_e32 v7, v7, v25
	s_delay_alu instid0(VALU_DEP_1) | instskip(SKIP_1) | instid1(VALU_DEP_1)
	v_mul_u64_e32 v[6:7], 24, v[6:7]
	s_wait_loadcnt 0x0
	v_add_nc_u64_e32 v[6:7], v[22:23], v[6:7]
	global_load_b64 v[22:23], v[6:7], off scope:SCOPE_SYS
	s_wait_xcnt 0x0
	s_wait_loadcnt 0x0
	global_atomic_cmpswap_b64 v[6:7], v31, v[22:25], s[2:3] offset:24 th:TH_ATOMIC_RETURN scope:SCOPE_SYS
	s_wait_loadcnt 0x0
	global_inv scope:SCOPE_SYS
	s_wait_xcnt 0x0
	v_cmpx_ne_u64_e64 v[6:7], v[24:25]
	s_cbranch_execz .LBB1_341
; %bb.338:                              ;   in Loop: Header=BB1_280 Depth=1
	s_mov_b32 s5, 0
.LBB1_339:                              ;   Parent Loop BB1_280 Depth=1
                                        ; =>  This Inner Loop Header: Depth=2
	s_sleep 1
	s_clause 0x1
	global_load_b64 v[22:23], v31, s[2:3] offset:40
	global_load_b64 v[34:35], v31, s[2:3]
	v_mov_b64_e32 v[24:25], v[6:7]
	s_wait_loadcnt 0x1
	s_delay_alu instid0(VALU_DEP_1) | instskip(NEXT) | instid1(VALU_DEP_2)
	v_and_b32_e32 v6, v22, v24
	v_and_b32_e32 v22, v23, v25
	s_wait_loadcnt 0x0
	s_delay_alu instid0(VALU_DEP_2) | instskip(NEXT) | instid1(VALU_DEP_1)
	v_mad_nc_u64_u32 v[6:7], v6, 24, v[34:35]
	v_mad_u32 v7, v22, 24, v7
	global_load_b64 v[22:23], v[6:7], off scope:SCOPE_SYS
	s_wait_xcnt 0x0
	s_wait_loadcnt 0x0
	global_atomic_cmpswap_b64 v[6:7], v31, v[22:25], s[2:3] offset:24 th:TH_ATOMIC_RETURN scope:SCOPE_SYS
	s_wait_loadcnt 0x0
	global_inv scope:SCOPE_SYS
	v_cmp_eq_u64_e32 vcc_lo, v[6:7], v[24:25]
	s_or_b32 s5, vcc_lo, s5
	s_wait_xcnt 0x0
	s_and_not1_b32 exec_lo, exec_lo, s5
	s_cbranch_execnz .LBB1_339
; %bb.340:                              ;   in Loop: Header=BB1_280 Depth=1
	s_or_b32 exec_lo, exec_lo, s5
.LBB1_341:                              ;   in Loop: Header=BB1_280 Depth=1
	s_delay_alu instid0(SALU_CYCLE_1)
	s_or_b32 exec_lo, exec_lo, s4
.LBB1_342:                              ;   in Loop: Header=BB1_280 Depth=1
	s_delay_alu instid0(SALU_CYCLE_1)
	s_or_b32 exec_lo, exec_lo, s1
	s_clause 0x1
	global_load_b64 v[34:35], v31, s[2:3] offset:40
	global_load_b128 v[22:25], v31, s[2:3]
	v_readfirstlane_b32 s4, v6
	v_readfirstlane_b32 s5, v7
	s_mov_b32 s1, exec_lo
	s_wait_loadcnt 0x1
	v_and_b32_e32 v36, s4, v34
	v_and_b32_e32 v37, s5, v35
	s_delay_alu instid0(VALU_DEP_1) | instskip(SKIP_1) | instid1(VALU_DEP_1)
	v_mul_u64_e32 v[6:7], 24, v[36:37]
	s_wait_loadcnt 0x0
	v_add_nc_u64_e32 v[34:35], v[22:23], v[6:7]
	s_wait_xcnt 0x0
	s_and_saveexec_b32 s11, s0
	s_cbranch_execz .LBB1_344
; %bb.343:                              ;   in Loop: Header=BB1_280 Depth=1
	v_dual_mov_b32 v6, s1 :: v_dual_mov_b32 v7, v31
	global_store_b128 v[34:35], v[6:9], off offset:8
.LBB1_344:                              ;   in Loop: Header=BB1_280 Depth=1
	s_wait_xcnt 0x0
	s_or_b32 exec_lo, exec_lo, s11
	v_cmp_gt_u64_e32 vcc_lo, 57, v[26:27]
	v_lshlrev_b64_e32 v[6:7], 12, v[36:37]
	v_and_b32_e32 v0, 0xffffff1f, v0
	v_lshl_add_u32 v36, v32, 2, 28
	v_cndmask_b32_e32 v29, 0, v28, vcc_lo
	s_delay_alu instid0(VALU_DEP_4) | instskip(NEXT) | instid1(VALU_DEP_2)
	v_add_nc_u64_e32 v[6:7], v[24:25], v[6:7]
	v_or_b32_e32 v0, v0, v29
	s_delay_alu instid0(VALU_DEP_2) | instskip(NEXT) | instid1(VALU_DEP_3)
	v_readfirstlane_b32 s12, v6
	v_readfirstlane_b32 s13, v7
	s_delay_alu instid0(VALU_DEP_3)
	v_and_or_b32 v0, 0x1e0, v36, v0
	s_clause 0x3
	global_store_b128 v30, v[0:3], s[12:13]
	global_store_b128 v30, v[10:13], s[12:13] offset:16
	global_store_b128 v30, v[14:17], s[12:13] offset:32
	;; [unrolled: 1-line block ×3, first 2 shown]
	s_wait_xcnt 0x0
	s_and_saveexec_b32 s1, s0
	s_cbranch_execz .LBB1_352
; %bb.345:                              ;   in Loop: Header=BB1_280 Depth=1
	s_clause 0x1
	global_load_b64 v[14:15], v31, s[2:3] offset:32 scope:SCOPE_SYS
	global_load_b64 v[0:1], v31, s[2:3] offset:40
	s_mov_b32 s11, exec_lo
	v_dual_mov_b32 v12, s4 :: v_dual_mov_b32 v13, s5
	s_wait_loadcnt 0x0
	v_and_b32_e32 v1, s5, v1
	v_and_b32_e32 v0, s4, v0
	s_delay_alu instid0(VALU_DEP_1) | instskip(NEXT) | instid1(VALU_DEP_1)
	v_mul_u64_e32 v[0:1], 24, v[0:1]
	v_add_nc_u64_e32 v[10:11], v[22:23], v[0:1]
	global_store_b64 v[10:11], v[14:15], off
	global_wb scope:SCOPE_SYS
	s_wait_storecnt 0x0
	s_wait_xcnt 0x0
	global_atomic_cmpswap_b64 v[2:3], v31, v[12:15], s[2:3] offset:32 th:TH_ATOMIC_RETURN scope:SCOPE_SYS
	s_wait_loadcnt 0x0
	v_cmpx_ne_u64_e64 v[2:3], v[14:15]
	s_cbranch_execz .LBB1_348
; %bb.346:                              ;   in Loop: Header=BB1_280 Depth=1
	s_mov_b32 s12, 0
.LBB1_347:                              ;   Parent Loop BB1_280 Depth=1
                                        ; =>  This Inner Loop Header: Depth=2
	v_dual_mov_b32 v0, s4 :: v_dual_mov_b32 v1, s5
	s_sleep 1
	global_store_b64 v[10:11], v[2:3], off
	global_wb scope:SCOPE_SYS
	s_wait_storecnt 0x0
	s_wait_xcnt 0x0
	global_atomic_cmpswap_b64 v[0:1], v31, v[0:3], s[2:3] offset:32 th:TH_ATOMIC_RETURN scope:SCOPE_SYS
	s_wait_loadcnt 0x0
	v_cmp_eq_u64_e32 vcc_lo, v[0:1], v[2:3]
	v_mov_b64_e32 v[2:3], v[0:1]
	s_or_b32 s12, vcc_lo, s12
	s_delay_alu instid0(SALU_CYCLE_1)
	s_and_not1_b32 exec_lo, exec_lo, s12
	s_cbranch_execnz .LBB1_347
.LBB1_348:                              ;   in Loop: Header=BB1_280 Depth=1
	s_or_b32 exec_lo, exec_lo, s11
	global_load_b64 v[0:1], v31, s[2:3] offset:16
	s_mov_b32 s12, exec_lo
	s_mov_b32 s11, exec_lo
	v_mbcnt_lo_u32_b32 v2, s12, 0
	s_wait_xcnt 0x0
	s_delay_alu instid0(VALU_DEP_1)
	v_cmpx_eq_u32_e32 0, v2
	s_cbranch_execz .LBB1_350
; %bb.349:                              ;   in Loop: Header=BB1_280 Depth=1
	s_bcnt1_i32_b32 s12, s12
	s_delay_alu instid0(SALU_CYCLE_1)
	v_dual_mov_b32 v3, v31 :: v_dual_mov_b32 v2, s12
	global_wb scope:SCOPE_SYS
	s_wait_loadcnt 0x0
	s_wait_storecnt 0x0
	global_atomic_add_u64 v[0:1], v[2:3], off offset:8 scope:SCOPE_SYS
.LBB1_350:                              ;   in Loop: Header=BB1_280 Depth=1
	s_wait_xcnt 0x0
	s_or_b32 exec_lo, exec_lo, s11
	s_wait_loadcnt 0x0
	global_load_b64 v[2:3], v[0:1], off offset:16
	s_wait_loadcnt 0x0
	v_cmp_eq_u64_e32 vcc_lo, 0, v[2:3]
	s_cbranch_vccnz .LBB1_352
; %bb.351:                              ;   in Loop: Header=BB1_280 Depth=1
	global_load_b32 v0, v[0:1], off offset:24
	s_wait_xcnt 0x0
	v_mov_b32_e32 v1, v31
	s_wait_loadcnt 0x0
	v_readfirstlane_b32 s11, v0
	global_wb scope:SCOPE_SYS
	s_wait_storecnt 0x0
	global_store_b64 v[2:3], v[0:1], off scope:SCOPE_SYS
	s_and_b32 m0, s11, 0xffffff
	s_sendmsg sendmsg(MSG_INTERRUPT)
.LBB1_352:                              ;   in Loop: Header=BB1_280 Depth=1
	s_wait_xcnt 0x0
	s_or_b32 exec_lo, exec_lo, s1
	v_add_nc_u64_e32 v[0:1], v[6:7], v[30:31]
	s_branch .LBB1_356
.LBB1_353:                              ;   in Loop: Header=BB1_356 Depth=2
	s_wait_xcnt 0x0
	s_or_b32 exec_lo, exec_lo, s1
	s_delay_alu instid0(VALU_DEP_1)
	v_readfirstlane_b32 s1, v2
	s_cmp_eq_u32 s1, 0
	s_cbranch_scc1 .LBB1_355
; %bb.354:                              ;   in Loop: Header=BB1_356 Depth=2
	s_sleep 1
	s_cbranch_execnz .LBB1_356
	s_branch .LBB1_358
.LBB1_355:                              ;   in Loop: Header=BB1_280 Depth=1
	s_branch .LBB1_358
.LBB1_356:                              ;   Parent Loop BB1_280 Depth=1
                                        ; =>  This Inner Loop Header: Depth=2
	v_mov_b32_e32 v2, 1
	s_and_saveexec_b32 s1, s0
	s_cbranch_execz .LBB1_353
; %bb.357:                              ;   in Loop: Header=BB1_356 Depth=2
	global_load_b32 v2, v[34:35], off offset:20 scope:SCOPE_SYS
	s_wait_loadcnt 0x0
	global_inv scope:SCOPE_SYS
	v_and_b32_e32 v2, 1, v2
	s_branch .LBB1_353
.LBB1_358:                              ;   in Loop: Header=BB1_280 Depth=1
	global_load_b64 v[0:1], v[0:1], off
	s_wait_xcnt 0x0
	s_and_saveexec_b32 s11, s0
	s_cbranch_execz .LBB1_279
; %bb.359:                              ;   in Loop: Header=BB1_280 Depth=1
	s_clause 0x2
	global_load_b64 v[2:3], v31, s[2:3] offset:40
	global_load_b64 v[14:15], v31, s[2:3] offset:24 scope:SCOPE_SYS
	global_load_b64 v[6:7], v31, s[2:3]
	s_wait_loadcnt 0x2
	v_readfirstlane_b32 s12, v2
	v_readfirstlane_b32 s13, v3
	s_add_nc_u64 s[0:1], s[12:13], 1
	s_delay_alu instid0(SALU_CYCLE_1) | instskip(NEXT) | instid1(SALU_CYCLE_1)
	s_add_nc_u64 s[4:5], s[0:1], s[4:5]
	s_cmp_eq_u64 s[4:5], 0
	s_cselect_b32 s1, s1, s5
	s_cselect_b32 s0, s0, s4
	s_delay_alu instid0(SALU_CYCLE_1) | instskip(SKIP_1) | instid1(SALU_CYCLE_1)
	v_dual_mov_b32 v13, s1 :: v_dual_mov_b32 v12, s0
	s_and_b64 s[4:5], s[0:1], s[12:13]
	s_mul_u64 s[4:5], s[4:5], 24
	s_wait_loadcnt 0x0
	v_add_nc_u64_e32 v[2:3], s[4:5], v[6:7]
	global_store_b64 v[2:3], v[14:15], off
	global_wb scope:SCOPE_SYS
	s_wait_storecnt 0x0
	s_wait_xcnt 0x0
	global_atomic_cmpswap_b64 v[12:13], v31, v[12:15], s[2:3] offset:24 th:TH_ATOMIC_RETURN scope:SCOPE_SYS
	s_wait_loadcnt 0x0
	v_cmp_ne_u64_e32 vcc_lo, v[12:13], v[14:15]
	s_and_b32 exec_lo, exec_lo, vcc_lo
	s_cbranch_execz .LBB1_279
; %bb.360:                              ;   in Loop: Header=BB1_280 Depth=1
	s_mov_b32 s4, 0
.LBB1_361:                              ;   Parent Loop BB1_280 Depth=1
                                        ; =>  This Inner Loop Header: Depth=2
	v_dual_mov_b32 v10, s0 :: v_dual_mov_b32 v11, s1
	s_sleep 1
	global_store_b64 v[2:3], v[12:13], off
	global_wb scope:SCOPE_SYS
	s_wait_storecnt 0x0
	s_wait_xcnt 0x0
	global_atomic_cmpswap_b64 v[6:7], v31, v[10:13], s[2:3] offset:24 th:TH_ATOMIC_RETURN scope:SCOPE_SYS
	s_wait_loadcnt 0x0
	v_cmp_eq_u64_e32 vcc_lo, v[6:7], v[12:13]
	v_mov_b64_e32 v[12:13], v[6:7]
	s_or_b32 s4, vcc_lo, s4
	s_delay_alu instid0(SALU_CYCLE_1)
	s_and_not1_b32 exec_lo, exec_lo, s4
	s_cbranch_execnz .LBB1_361
	s_branch .LBB1_279
.LBB1_362:
	s_or_b32 exec_lo, exec_lo, s7
                                        ; implicit-def: $vgpr30
                                        ; implicit-def: $vgpr48
.LBB1_363:
	s_and_not1_saveexec_b32 s6, s6
	s_cbranch_execz .LBB1_391
; %bb.364:
	v_readfirstlane_b32 s0, v48
	v_mov_b64_e32 v[2:3], 0
	s_delay_alu instid0(VALU_DEP_2)
	v_cmp_eq_u32_e64 s0, s0, v48
	s_and_saveexec_b32 s1, s0
	s_cbranch_execz .LBB1_370
; %bb.365:
	v_mov_b32_e32 v4, 0
	s_mov_b32 s4, exec_lo
	global_load_b64 v[8:9], v4, s[2:3] offset:24 scope:SCOPE_SYS
	s_wait_loadcnt 0x0
	global_inv scope:SCOPE_SYS
	s_clause 0x1
	global_load_b64 v[2:3], v4, s[2:3] offset:40
	global_load_b64 v[6:7], v4, s[2:3]
	s_wait_loadcnt 0x1
	v_and_b32_e32 v2, v2, v8
	v_and_b32_e32 v3, v3, v9
	s_delay_alu instid0(VALU_DEP_1) | instskip(SKIP_1) | instid1(VALU_DEP_1)
	v_mul_u64_e32 v[2:3], 24, v[2:3]
	s_wait_loadcnt 0x0
	v_add_nc_u64_e32 v[2:3], v[6:7], v[2:3]
	global_load_b64 v[6:7], v[2:3], off scope:SCOPE_SYS
	s_wait_xcnt 0x0
	s_wait_loadcnt 0x0
	global_atomic_cmpswap_b64 v[2:3], v4, v[6:9], s[2:3] offset:24 th:TH_ATOMIC_RETURN scope:SCOPE_SYS
	s_wait_loadcnt 0x0
	global_inv scope:SCOPE_SYS
	s_wait_xcnt 0x0
	v_cmpx_ne_u64_e64 v[2:3], v[8:9]
	s_cbranch_execz .LBB1_369
; %bb.366:
	s_mov_b32 s5, 0
.LBB1_367:                              ; =>This Inner Loop Header: Depth=1
	s_sleep 1
	s_clause 0x1
	global_load_b64 v[6:7], v4, s[2:3] offset:40
	global_load_b64 v[10:11], v4, s[2:3]
	v_mov_b64_e32 v[8:9], v[2:3]
	s_wait_loadcnt 0x1
	s_delay_alu instid0(VALU_DEP_1) | instskip(NEXT) | instid1(VALU_DEP_2)
	v_and_b32_e32 v2, v6, v8
	v_and_b32_e32 v5, v7, v9
	s_wait_loadcnt 0x0
	s_delay_alu instid0(VALU_DEP_2) | instskip(NEXT) | instid1(VALU_DEP_1)
	v_mad_nc_u64_u32 v[2:3], v2, 24, v[10:11]
	v_mad_u32 v3, v5, 24, v3
	global_load_b64 v[6:7], v[2:3], off scope:SCOPE_SYS
	s_wait_xcnt 0x0
	s_wait_loadcnt 0x0
	global_atomic_cmpswap_b64 v[2:3], v4, v[6:9], s[2:3] offset:24 th:TH_ATOMIC_RETURN scope:SCOPE_SYS
	s_wait_loadcnt 0x0
	global_inv scope:SCOPE_SYS
	v_cmp_eq_u64_e32 vcc_lo, v[2:3], v[8:9]
	s_or_b32 s5, vcc_lo, s5
	s_wait_xcnt 0x0
	s_and_not1_b32 exec_lo, exec_lo, s5
	s_cbranch_execnz .LBB1_367
; %bb.368:
	s_or_b32 exec_lo, exec_lo, s5
.LBB1_369:
	s_delay_alu instid0(SALU_CYCLE_1)
	s_or_b32 exec_lo, exec_lo, s4
.LBB1_370:
	s_delay_alu instid0(SALU_CYCLE_1)
	s_or_b32 exec_lo, exec_lo, s1
	v_readfirstlane_b32 s4, v2
	v_mov_b32_e32 v31, 0
	v_readfirstlane_b32 s5, v3
	s_mov_b32 s1, exec_lo
	s_clause 0x1
	global_load_b64 v[8:9], v31, s[2:3] offset:40
	global_load_b128 v[4:7], v31, s[2:3]
	s_wait_loadcnt 0x1
	v_and_b32_e32 v2, s4, v8
	v_and_b32_e32 v3, s5, v9
	s_delay_alu instid0(VALU_DEP_1) | instskip(SKIP_1) | instid1(VALU_DEP_1)
	v_mul_u64_e32 v[8:9], 24, v[2:3]
	s_wait_loadcnt 0x0
	v_add_nc_u64_e32 v[8:9], v[4:5], v[8:9]
	s_wait_xcnt 0x0
	s_and_saveexec_b32 s7, s0
	s_cbranch_execz .LBB1_372
; %bb.371:
	v_mov_b64_e32 v[12:13], 0x100000002
	v_dual_mov_b32 v10, s1 :: v_dual_mov_b32 v11, v31
	global_store_b128 v[8:9], v[10:13], off offset:8
.LBB1_372:
	s_wait_xcnt 0x0
	s_or_b32 exec_lo, exec_lo, s7
	v_lshlrev_b64_e32 v[2:3], 12, v[2:3]
	s_mov_b32 s12, 0
	v_and_or_b32 v0, 0xffffff1f, v0, 32
	s_mov_b32 s13, s12
	s_mov_b32 s14, s12
	;; [unrolled: 1-line block ×3, first 2 shown]
	v_mov_b64_e32 v[10:11], s[12:13]
	v_add_nc_u64_e32 v[6:7], v[6:7], v[2:3]
	v_mov_b64_e32 v[12:13], s[14:15]
	v_dual_mov_b32 v2, v31 :: v_dual_mov_b32 v3, v31
	s_delay_alu instid0(VALU_DEP_3) | instskip(NEXT) | instid1(VALU_DEP_4)
	v_readfirstlane_b32 s10, v6
	v_readfirstlane_b32 s11, v7
	s_clause 0x3
	global_store_b128 v30, v[0:3], s[10:11]
	global_store_b128 v30, v[10:13], s[10:11] offset:16
	global_store_b128 v30, v[10:13], s[10:11] offset:32
	global_store_b128 v30, v[10:13], s[10:11] offset:48
	s_wait_xcnt 0x0
	s_and_saveexec_b32 s1, s0
	s_cbranch_execz .LBB1_380
; %bb.373:
	v_dual_mov_b32 v10, 0 :: v_dual_mov_b32 v13, s5
	s_mov_b32 s7, exec_lo
	s_clause 0x1
	global_load_b64 v[14:15], v10, s[2:3] offset:32 scope:SCOPE_SYS
	global_load_b64 v[0:1], v10, s[2:3] offset:40
	s_wait_loadcnt 0x0
	v_dual_mov_b32 v12, s4 :: v_dual_bitop2_b32 v1, s5, v1 bitop3:0x40
	v_and_b32_e32 v0, s4, v0
	s_delay_alu instid0(VALU_DEP_1) | instskip(NEXT) | instid1(VALU_DEP_1)
	v_mul_u64_e32 v[0:1], 24, v[0:1]
	v_add_nc_u64_e32 v[4:5], v[4:5], v[0:1]
	global_store_b64 v[4:5], v[14:15], off
	global_wb scope:SCOPE_SYS
	s_wait_storecnt 0x0
	s_wait_xcnt 0x0
	global_atomic_cmpswap_b64 v[2:3], v10, v[12:15], s[2:3] offset:32 th:TH_ATOMIC_RETURN scope:SCOPE_SYS
	s_wait_loadcnt 0x0
	v_cmpx_ne_u64_e64 v[2:3], v[14:15]
	s_cbranch_execz .LBB1_376
; %bb.374:
	s_mov_b32 s10, 0
.LBB1_375:                              ; =>This Inner Loop Header: Depth=1
	v_dual_mov_b32 v0, s4 :: v_dual_mov_b32 v1, s5
	s_sleep 1
	global_store_b64 v[4:5], v[2:3], off
	global_wb scope:SCOPE_SYS
	s_wait_storecnt 0x0
	s_wait_xcnt 0x0
	global_atomic_cmpswap_b64 v[0:1], v10, v[0:3], s[2:3] offset:32 th:TH_ATOMIC_RETURN scope:SCOPE_SYS
	s_wait_loadcnt 0x0
	v_cmp_eq_u64_e32 vcc_lo, v[0:1], v[2:3]
	v_mov_b64_e32 v[2:3], v[0:1]
	s_or_b32 s10, vcc_lo, s10
	s_delay_alu instid0(SALU_CYCLE_1)
	s_and_not1_b32 exec_lo, exec_lo, s10
	s_cbranch_execnz .LBB1_375
.LBB1_376:
	s_or_b32 exec_lo, exec_lo, s7
	v_mov_b32_e32 v3, 0
	s_mov_b32 s10, exec_lo
	s_mov_b32 s7, exec_lo
	v_mbcnt_lo_u32_b32 v2, s10, 0
	global_load_b64 v[0:1], v3, s[2:3] offset:16
	s_wait_xcnt 0x0
	v_cmpx_eq_u32_e32 0, v2
	s_cbranch_execz .LBB1_378
; %bb.377:
	s_bcnt1_i32_b32 s10, s10
	s_delay_alu instid0(SALU_CYCLE_1)
	v_mov_b32_e32 v2, s10
	global_wb scope:SCOPE_SYS
	s_wait_loadcnt 0x0
	s_wait_storecnt 0x0
	global_atomic_add_u64 v[0:1], v[2:3], off offset:8 scope:SCOPE_SYS
.LBB1_378:
	s_wait_xcnt 0x0
	s_or_b32 exec_lo, exec_lo, s7
	s_wait_loadcnt 0x0
	global_load_b64 v[2:3], v[0:1], off offset:16
	s_wait_loadcnt 0x0
	v_cmp_eq_u64_e32 vcc_lo, 0, v[2:3]
	s_cbranch_vccnz .LBB1_380
; %bb.379:
	global_load_b32 v0, v[0:1], off offset:24
	s_wait_xcnt 0x0
	v_mov_b32_e32 v1, 0
	s_wait_loadcnt 0x0
	v_readfirstlane_b32 s7, v0
	global_wb scope:SCOPE_SYS
	s_wait_storecnt 0x0
	global_store_b64 v[2:3], v[0:1], off scope:SCOPE_SYS
	s_and_b32 m0, s7, 0xffffff
	s_sendmsg sendmsg(MSG_INTERRUPT)
.LBB1_380:
	s_wait_xcnt 0x0
	s_or_b32 exec_lo, exec_lo, s1
	v_add_nc_u64_e32 v[0:1], v[6:7], v[30:31]
	s_branch .LBB1_384
.LBB1_381:                              ;   in Loop: Header=BB1_384 Depth=1
	s_wait_xcnt 0x0
	s_or_b32 exec_lo, exec_lo, s1
	s_delay_alu instid0(VALU_DEP_1)
	v_readfirstlane_b32 s1, v2
	s_cmp_eq_u32 s1, 0
	s_cbranch_scc1 .LBB1_383
; %bb.382:                              ;   in Loop: Header=BB1_384 Depth=1
	s_sleep 1
	s_cbranch_execnz .LBB1_384
	s_branch .LBB1_386
.LBB1_383:
	s_branch .LBB1_386
.LBB1_384:                              ; =>This Inner Loop Header: Depth=1
	v_mov_b32_e32 v2, 1
	s_and_saveexec_b32 s1, s0
	s_cbranch_execz .LBB1_381
; %bb.385:                              ;   in Loop: Header=BB1_384 Depth=1
	global_load_b32 v2, v[8:9], off offset:20 scope:SCOPE_SYS
	s_wait_loadcnt 0x0
	global_inv scope:SCOPE_SYS
	v_and_b32_e32 v2, 1, v2
	s_branch .LBB1_381
.LBB1_386:
	global_load_b64 v[0:1], v[0:1], off
	s_wait_xcnt 0x0
	s_and_saveexec_b32 s7, s0
	s_cbranch_execz .LBB1_390
; %bb.387:
	v_mov_b32_e32 v8, 0
	s_clause 0x2
	global_load_b64 v[2:3], v8, s[2:3] offset:40
	global_load_b64 v[12:13], v8, s[2:3] offset:24 scope:SCOPE_SYS
	global_load_b64 v[4:5], v8, s[2:3]
	s_wait_loadcnt 0x2
	v_readfirstlane_b32 s10, v2
	v_readfirstlane_b32 s11, v3
	s_add_nc_u64 s[0:1], s[10:11], 1
	s_delay_alu instid0(SALU_CYCLE_1) | instskip(NEXT) | instid1(SALU_CYCLE_1)
	s_add_nc_u64 s[4:5], s[0:1], s[4:5]
	s_cmp_eq_u64 s[4:5], 0
	s_cselect_b32 s1, s1, s5
	s_cselect_b32 s0, s0, s4
	v_mov_b32_e32 v11, s1
	s_and_b64 s[4:5], s[0:1], s[10:11]
	v_mov_b32_e32 v10, s0
	s_mul_u64 s[4:5], s[4:5], 24
	s_wait_loadcnt 0x0
	v_add_nc_u64_e32 v[6:7], s[4:5], v[4:5]
	global_store_b64 v[6:7], v[12:13], off
	global_wb scope:SCOPE_SYS
	s_wait_storecnt 0x0
	s_wait_xcnt 0x0
	global_atomic_cmpswap_b64 v[4:5], v8, v[10:13], s[2:3] offset:24 th:TH_ATOMIC_RETURN scope:SCOPE_SYS
	s_wait_loadcnt 0x0
	v_cmp_ne_u64_e32 vcc_lo, v[4:5], v[12:13]
	s_and_b32 exec_lo, exec_lo, vcc_lo
	s_cbranch_execz .LBB1_390
; %bb.388:
	s_mov_b32 s4, 0
.LBB1_389:                              ; =>This Inner Loop Header: Depth=1
	v_dual_mov_b32 v2, s0 :: v_dual_mov_b32 v3, s1
	s_sleep 1
	global_store_b64 v[6:7], v[4:5], off
	global_wb scope:SCOPE_SYS
	s_wait_storecnt 0x0
	s_wait_xcnt 0x0
	global_atomic_cmpswap_b64 v[2:3], v8, v[2:5], s[2:3] offset:24 th:TH_ATOMIC_RETURN scope:SCOPE_SYS
	s_wait_loadcnt 0x0
	v_cmp_eq_u64_e32 vcc_lo, v[2:3], v[4:5]
	v_mov_b64_e32 v[4:5], v[2:3]
	s_or_b32 s4, vcc_lo, s4
	s_delay_alu instid0(SALU_CYCLE_1)
	s_and_not1_b32 exec_lo, exec_lo, s4
	s_cbranch_execnz .LBB1_389
.LBB1_390:
	s_or_b32 exec_lo, exec_lo, s7
.LBB1_391:
	s_delay_alu instid0(SALU_CYCLE_1)
	s_or_b32 exec_lo, exec_lo, s6
	s_get_pc_i64 s[0:1]
	s_add_nc_u64 s[0:1], s[0:1], .str.3@rel64+4
	s_get_pc_i64 s[2:3]
	s_add_nc_u64 s[2:3], s[2:3], .str.3@rel64+32
	v_dual_mov_b32 v2, s0 :: v_dual_mov_b32 v3, s1
	s_sub_co_i32 s4, s2, s0
	v_mov_b32_e32 v6, 1
	s_ashr_i32 s5, s4, 31
	s_delay_alu instid0(SALU_CYCLE_1) | instskip(SKIP_2) | instid1(SALU_CYCLE_1)
	v_dual_mov_b32 v4, s4 :: v_dual_mov_b32 v5, s5
	s_get_pc_i64 s[2:3]
	s_add_nc_u64 s[2:3], s[2:3], __ockl_fprintf_append_string_n@rel64+4
	s_swap_pc_i64 s[30:31], s[2:3]
	s_trap 2
.Lfunc_end1:
	.size	__assert_fail, .Lfunc_end1-__assert_fail
                                        ; -- End function
	.set .L__assert_fail.num_vgpr, max(49, .L__ockl_fprintf_append_string_n.num_vgpr)
	.set .L__assert_fail.num_agpr, max(0, .L__ockl_fprintf_append_string_n.num_agpr)
	.set .L__assert_fail.numbered_sgpr, max(34, .L__ockl_fprintf_append_string_n.numbered_sgpr)
	.set .L__assert_fail.num_named_barrier, max(0, .L__ockl_fprintf_append_string_n.num_named_barrier)
	.set .L__assert_fail.private_seg_size, 64+max(.L__ockl_fprintf_append_string_n.private_seg_size)
	.set .L__assert_fail.uses_vcc, or(1, .L__ockl_fprintf_append_string_n.uses_vcc)
	.set .L__assert_fail.uses_flat_scratch, or(1, .L__ockl_fprintf_append_string_n.uses_flat_scratch)
	.set .L__assert_fail.has_dyn_sized_stack, or(0, .L__ockl_fprintf_append_string_n.has_dyn_sized_stack)
	.set .L__assert_fail.has_recursion, or(0, .L__ockl_fprintf_append_string_n.has_recursion)
	.set .L__assert_fail.has_indirect_call, or(0, .L__ockl_fprintf_append_string_n.has_indirect_call)
	.section	.AMDGPU.csdata,"",@progbits
; Function info:
; codeLenInByte = 15740
; TotalNumSgprs: 36
; NumVgprs: 49
; ScratchSize: 64
; MemoryBound: 0
	.text
	.p2align	2                               ; -- Begin function _ZN12_GLOBAL__N_17runRingIm14FuncSumPostDivImE11ProtoSimpleILi2ELi2ELi0ELi1ELi0ELi0EELi0ELi0ELi1ELi0EEEviiP15ncclDevWorkColl
	.type	_ZN12_GLOBAL__N_17runRingIm14FuncSumPostDivImE11ProtoSimpleILi2ELi2ELi0ELi1ELi0ELi0EELi0ELi0ELi1ELi0EEEviiP15ncclDevWorkColl,@function
_ZN12_GLOBAL__N_17runRingIm14FuncSumPostDivImE11ProtoSimpleILi2ELi2ELi0ELi1ELi0ELi0EELi0ELi0ELi1ELi0EEEviiP15ncclDevWorkColl: ; @_ZN12_GLOBAL__N_17runRingIm14FuncSumPostDivImE11ProtoSimpleILi2ELi2ELi0ELi1ELi0ELi0EELi0ELi0ELi1ELi0EEEviiP15ncclDevWorkColl
; %bb.0:
	s_wait_loadcnt_dscnt 0x0
	s_wait_kmcnt 0x0
	s_mov_b32 s89, s33
	s_mov_b32 s33, s32
	s_or_saveexec_b32 s0, -1
	scratch_store_b32 off, v120, s33 offset:160 ; 4-byte Folded Spill
	s_wait_xcnt 0x0
	s_mov_b32 exec_lo, s0
	s_addk_co_i32 s32, 0xb0
	s_clause 0x27
	scratch_store_b32 off, v40, s33 offset:156
	; meta instruction
	scratch_store_b32 off, v41, s33 offset:152
	; meta instruction
	;; [unrolled: 2-line block ×39, first 2 shown]
	scratch_store_b32 off, v111, s33
	v_writelane_b32 v120, s30, 0
	v_writelane_b32 v120, s31, 1
	s_trap 2
	flat_load_b32 v7, v[2:3]
	ds_load_b32 v6, v4
	s_mov_b32 s0, exec_lo
                                        ; implicit-def: $vgpr32_vgpr33
                                        ; implicit-def: $vgpr14_vgpr15
                                        ; implicit-def: $vgpr4_vgpr5
	s_wait_dscnt 0x0
	v_readfirstlane_b32 s18, v6
	s_wait_loadcnt 0x0
	v_and_b32_e32 v8, 0xff, v7
	s_wait_xcnt 0x0
	s_delay_alu instid0(VALU_DEP_1)
	v_cmpx_ne_u32_e64 v6, v8
	s_xor_b32 s0, exec_lo, s0
	s_cbranch_execz .LBB2_6
; %bb.1:
	v_bfe_u32 v9, v7, 8, 8
	v_not_b32_e32 v8, v8
	s_mov_b32 s1, exec_lo
                                        ; implicit-def: $vgpr32_vgpr33
                                        ; implicit-def: $vgpr14_vgpr15
                                        ; implicit-def: $vgpr4_vgpr5
	s_delay_alu instid0(VALU_DEP_2)
	v_cmpx_ne_u32_e64 v6, v9
	s_xor_b32 s1, exec_lo, s1
	s_cbranch_execz .LBB2_3
; %bb.2:
	s_clause 0x1
	flat_load_b128 v[10:13], v[2:3] offset:72
	flat_load_b64 v[4:5], v[2:3] offset:96
	v_add_nc_u32_e32 v6, v6, v8
                                        ; implicit-def: $vgpr9
                                        ; implicit-def: $vgpr8
	s_wait_loadcnt_dscnt 0x101
	s_delay_alu instid0(VALU_DEP_1) | instskip(SKIP_3) | instid1(VALU_DEP_3)
	v_mad_nc_u64_u32 v[14:15], v12, v6, v[10:11]
	s_wait_loadcnt_dscnt 0x0
	v_lshrrev_b64 v[32:33], 15, v[4:5]
	v_mov_b64_e32 v[4:5], v[12:13]
	v_mad_u32 v7, v13, v6, v15
	v_ashrrev_i32_e32 v6, 31, v6
	s_delay_alu instid0(VALU_DEP_1)
	v_mad_u32 v15, v12, v6, v7
.LBB2_3:
	s_wait_xcnt 0x0
	s_and_not1_saveexec_b32 s1, s1
	s_cbranch_execz .LBB2_5
; %bb.4:
	s_clause 0x1
	flat_load_b128 v[10:13], v[2:3] offset:72
	flat_load_b128 v[4:7], v[2:3] offset:88
	s_wait_loadcnt_dscnt 0x0
	v_dual_add_nc_u32 v6, v9, v8 :: v_dual_lshrrev_b32 v32, 4, v7
	s_delay_alu instid0(VALU_DEP_1) | instskip(NEXT) | instid1(VALU_DEP_1)
	v_mad_nc_u64_u32 v[14:15], v12, v6, v[10:11]
	v_mad_u32 v8, v13, v6, v15
	v_ashrrev_i32_e32 v6, 31, v6
	s_delay_alu instid0(VALU_DEP_1)
	v_mad_u32 v15, v12, v6, v8
.LBB2_5:
	s_wait_xcnt 0x0
	s_or_b32 exec_lo, exec_lo, s1
.LBB2_6:
	s_and_not1_saveexec_b32 s0, s0
	s_cbranch_execz .LBB2_8
; %bb.7:
	s_clause 0x1
	flat_load_b64 v[6:7], v[2:3] offset:96
	flat_load_b64 v[4:5], v[2:3] offset:72
	v_mov_b64_e32 v[14:15], 0
	s_wait_loadcnt_dscnt 0x101
	v_lshlrev_b64_e32 v[32:33], 6, v[6:7]
.LBB2_8:
	s_wait_xcnt 0x0
	s_or_b32 exec_lo, exec_lo, s0
	s_trap 2
	ds_load_b64 v[6:7], v7
	s_mov_b32 s1, 0
	s_mov_b32 s2, exec_lo
	s_wait_dscnt 0x0
	v_cmp_ne_u32_e32 vcc_lo, -1, v6
	v_cndmask_b32_e64 v37, 0, 1, vcc_lo
	v_cmp_ne_u32_e32 vcc_lo, -1, v7
	s_delay_alu instid0(VALU_DEP_2) | instskip(NEXT) | instid1(VALU_DEP_1)
	v_add_co_ci_u32_e64 v8, null, 0, v37, vcc_lo
	v_lshlrev_b32_e32 v6, 1, v8
	s_delay_alu instid0(VALU_DEP_1)
	v_cmpx_le_u32_e64 v6, v1
	s_xor_b32 s56, exec_lo, s2
	s_cbranch_execz .LBB2_1310
; %bb.9:
	s_clause 0x3
	flat_load_b128 v[10:13], v[2:3] offset:16
	flat_load_b64 v[34:35], v[2:3] offset:104
	flat_load_u16 v7, v[2:3] offset:8
	flat_load_b32 v6, v[2:3] offset:4
	s_trap 2
	s_load_b32 s0, s[8:9], 0x0
	s_bfe_u32 s2, ttmp6, 0x4000c
	s_and_b32 s3, ttmp6, 15
	s_add_co_i32 s2, s2, 1
	s_getreg_b32 s4, hwreg(HW_REG_IB_STS2, 6, 4)
	s_mul_i32 s2, ttmp9, s2
	v_dual_mov_b32 v9, 0 :: v_dual_mov_b32 v30, 4
	s_add_co_i32 s3, s3, s2
	s_cmp_eq_u32 s4, 0
	s_cselect_b32 s2, ttmp9, s3
	s_wait_kmcnt 0x0
	s_cmp_lt_u32 s2, s0
	s_cselect_b32 s0, 12, 18
	s_delay_alu instid0(SALU_CYCLE_1)
	s_add_nc_u64 s[0:1], s[8:9], s[0:1]
	global_load_u16 v23, v9, s[0:1]
	s_wait_xcnt 0x0
	ds_load_b32 v9, v16
	s_mov_b32 s1, exec_lo
	s_wait_dscnt 0x0
	v_readfirstlane_b32 s6, v9
	v_cmpx_ge_u32_e64 v0, v37
	s_cbranch_execz .LBB2_19
; %bb.10:
	v_cmp_ge_u32_e64 s0, v0, v8
                                        ; implicit-def: $vgpr30
	s_and_saveexec_b32 s2, s0
	s_delay_alu instid0(SALU_CYCLE_1)
	s_xor_b32 s0, exec_lo, s2
	s_cbranch_execz .LBB2_16
; %bb.11:
	v_cndmask_b32_e64 v9, 0, 1, vcc_lo
	s_mov_b32 s2, exec_lo
	s_delay_alu instid0(VALU_DEP_1) | instskip(NEXT) | instid1(VALU_DEP_1)
	v_sub_nc_u32_e32 v9, v1, v9
	v_cmpx_ge_u32_e64 v0, v9
	s_xor_b32 s2, exec_lo, s2
; %bb.12:
                                        ; implicit-def: $vgpr8
; %bb.13:
	s_delay_alu instid0(SALU_CYCLE_1)
	s_or_saveexec_b32 s2, s2
	v_mov_b32_e32 v30, 16
	s_xor_b32 exec_lo, exec_lo, s2
; %bb.14:
	v_sub_nc_u32_e32 v8, v1, v8
	s_delay_alu instid0(VALU_DEP_1)
	v_cmp_lt_i32_e32 vcc_lo, v0, v8
	v_cndmask_b32_e64 v30, 32, 0, vcc_lo
; %bb.15:
	s_or_b32 exec_lo, exec_lo, s2
.LBB2_16:
	s_and_not1_saveexec_b32 s0, s0
; %bb.17:
	v_mov_b32_e32 v30, 8
; %bb.18:
	s_or_b32 exec_lo, exec_lo, s0
.LBB2_19:
	s_delay_alu instid0(SALU_CYCLE_1) | instskip(NEXT) | instid1(VALU_DEP_1)
	s_or_b32 exec_lo, exec_lo, s1
	v_dual_mov_b32 v33, -1 :: v_dual_bitop2_b32 v8, 36, v30 bitop3:0x40
	s_delay_alu instid0(VALU_DEP_1)
	v_cmp_ne_u32_e32 vcc_lo, 0, v8
	s_and_saveexec_b32 s0, vcc_lo
	s_cbranch_execz .LBB2_21
; %bb.20:
	s_trap 2
	ds_load_b32 v33, v8
.LBB2_21:
	s_or_b32 exec_lo, exec_lo, s0
	v_and_b32_e32 v8, 24, v30
	s_mov_b32 s1, exec_lo
	s_delay_alu instid0(VALU_DEP_1)
	v_cmpx_ne_u32_e32 0, v8
	s_cbranch_execz .LBB2_23
; %bb.22:
	s_trap 2
	s_wait_dscnt 0x0
	ds_load_b32 v33, v8
.LBB2_23:
	s_or_b32 exec_lo, exec_lo, s1
	s_wait_loadcnt 0x1
	v_lshrrev_b64 v[8:9], 31, v[6:7]
	v_mov_b64_e32 v[18:19], 0
	v_mov_b64_e32 v[6:7], 0
                                        ; implicit-def: $vgpr16_vgpr17
                                        ; implicit-def: $vgpr22
                                        ; implicit-def: $vgpr98_vgpr99
                                        ; implicit-def: $vgpr24_vgpr25
                                        ; implicit-def: $vgpr28_vgpr29
                                        ; implicit-def: $vgpr20_vgpr21
	s_delay_alu instid0(VALU_DEP_3)
	v_and_b32_e32 v36, 3, v8
	s_and_saveexec_b32 s0, vcc_lo
	s_cbranch_execz .LBB2_33
; %bb.24:
	s_trap 2
	ds_load_b64 v[6:7], v7
	v_and_b32_e32 v8, 0xffff, v36
	s_mov_b32 s1, exec_lo
                                        ; implicit-def: $vgpr16_vgpr17
	s_wait_dscnt 0x0
	v_readfirstlane_b32 s2, v6
	v_readfirstlane_b32 s3, v7
	flat_load_b64 v[6:7], v33, s[2:3] scale_offset
	s_wait_loadcnt_dscnt 0x0
	v_mad_nc_u64_u32 v[8:9], 0xa8, v8, v[6:7]
	flat_load_b32 v6, v[8:9] offset:640
	s_wait_loadcnt_dscnt 0x0
	v_cmpx_eq_u32_e32 1, v6
	s_cbranch_execz .LBB2_26
; %bb.25:
	flat_load_b64 v[16:17], v[8:9] offset:648
	v_or_b32_e32 v30, 0x2000, v30
	s_wait_loadcnt_dscnt 0x0
	flat_load_b64 v[6:7], v[16:17]
	s_trap 2
	s_wait_loadcnt_dscnt 0x0
	ds_store_b64 v18, v[6:7]
	flat_load_b64 v[6:7], v[16:17] offset:8
	s_wait_loadcnt_dscnt 0x0
	ds_store_b64 v18, v[6:7]
	flat_load_b64 v[6:7], v[16:17] offset:16
	s_wait_loadcnt_dscnt 0x0
	ds_store_b64 v18, v[6:7]
.LBB2_26:
	s_wait_xcnt 0x0
	s_or_b32 exec_lo, exec_lo, s1
	flat_load_b64 v[6:7], v[8:9] offset:608
	s_mov_b32 s1, exec_lo
                                        ; implicit-def: $vgpr20_vgpr21
	s_wait_loadcnt_dscnt 0x0
	v_add_nc_u64_e32 v[98:99], 3, v[6:7]
	v_and_b32_e32 v6, 32, v30
	s_delay_alu instid0(VALU_DEP_2) | instskip(SKIP_1) | instid1(VALU_DEP_2)
	v_and_b32_e32 v98, -4, v98
	s_wait_xcnt 0x0
	v_cmpx_ne_u32_e32 0, v6
	s_cbranch_execz .LBB2_28
; %bb.27:
	flat_load_b64 v[20:21], v[8:9] offset:560
	global_wb scope:SCOPE_SYS
	s_wait_storecnt 0x0
	s_wait_xcnt 0x0
	s_wait_loadcnt_dscnt 0x0
	flat_store_b64 v[20:21], v[98:99] scope:SCOPE_SYS
.LBB2_28:
	s_wait_xcnt 0x0
	s_or_b32 exec_lo, exec_lo, s1
	v_and_b32_e32 v22, 4, v30
	v_add_nc_u64_e32 v[18:19], 0x1f8, v[8:9]
	v_mov_b64_e32 v[6:7], 0
                                        ; implicit-def: $vgpr24_vgpr25
                                        ; implicit-def: $vgpr28_vgpr29
	s_delay_alu instid0(VALU_DEP_3)
	v_cmp_ne_u32_e32 vcc_lo, 0, v22
                                        ; implicit-def: $vgpr22
	s_and_saveexec_b32 s1, vcc_lo
	s_cbranch_execz .LBB2_32
; %bb.29:
	v_and_b32_e32 v6, 0x800, v30
	s_mov_b32 s2, exec_lo
	s_delay_alu instid0(VALU_DEP_1)
	v_cmpx_eq_u32_e32 0, v6
	s_cbranch_execz .LBB2_31
; %bb.30:
	s_trap 2
	ds_store_b64 v6, v[18:19]
.LBB2_31:
	s_or_b32 exec_lo, exec_lo, s2
	flat_load_b64 v[20:21], v[8:9] offset:552
	s_wait_loadcnt_dscnt 0x0
	flat_load_b64 v[28:29], v[20:21] scope:SCOPE_SYS
	s_clause 0x2
	flat_load_b32 v22, v[8:9] offset:576
	flat_load_b64 v[6:7], v[8:9] offset:600
	flat_load_b64 v[24:25], v[8:9] offset:520
	s_wait_xcnt 0x0
	v_or_b32_e32 v8, 0x100, v30
	s_wait_loadcnt_dscnt 0x202
	v_ashrrev_i32_e32 v22, 3, v22
	s_wait_loadcnt_dscnt 0x101
	v_cmp_eq_u64_e32 vcc_lo, 0, v[6:7]
	v_cndmask_b32_e32 v30, v8, v30, vcc_lo
.LBB2_32:
	s_or_b32 exec_lo, exec_lo, s1
.LBB2_33:
	s_delay_alu instid0(SALU_CYCLE_1) | instskip(NEXT) | instid1(VALU_DEP_1)
	s_or_b32 exec_lo, exec_lo, s0
	v_and_b32_e32 v8, 24, v30
	s_mov_b32 s0, exec_lo
                                        ; implicit-def: $vgpr26_vgpr27
	s_delay_alu instid0(VALU_DEP_1)
	v_cmpx_ne_u32_e32 0, v8
	s_cbranch_execz .LBB2_41
; %bb.34:
	s_trap 2
	ds_load_b64 v[6:7], v27
	v_and_b32_e32 v8, 0xffff, v36
	v_or_b32_e32 v26, 0x100, v30
	s_wait_dscnt 0x0
	v_readfirstlane_b32 s2, v6
	v_readfirstlane_b32 s3, v7
	flat_load_b64 v[6:7], v33, s[2:3] scale_offset
	s_wait_loadcnt_dscnt 0x0
	v_mad_nc_u64_u32 v[18:19], 0xa8, v8, v[6:7]
	flat_load_b128 v[6:9], v[18:19] offset:96
	s_wait_loadcnt_dscnt 0x0
	v_cmp_eq_u64_e32 vcc_lo, 0, v[6:7]
	v_cndmask_b32_e32 v30, v26, v30, vcc_lo
	s_delay_alu instid0(VALU_DEP_1) | instskip(NEXT) | instid1(VALU_DEP_1)
	v_and_b32_e32 v26, 16, v30
	v_cmp_ne_u32_e32 vcc_lo, 0, v26
                                        ; implicit-def: $vgpr26_vgpr27
	s_wait_xcnt 0x0
	s_and_saveexec_b32 s1, vcc_lo
	s_cbranch_execz .LBB2_36
; %bb.35:
	s_clause 0x2
	flat_load_b64 v[20:21], v[18:19] offset:48
	flat_load_b64 v[26:27], v[18:19] offset:120
	;; [unrolled: 1-line block ×3, first 2 shown]
.LBB2_36:
	s_wait_xcnt 0x0
	s_or_b32 exec_lo, exec_lo, s1
	v_add_nc_u64_e32 v[98:99], 3, v[8:9]
	v_and_b32_e32 v8, 8, v30
	s_mov_b32 s1, exec_lo
	s_delay_alu instid0(VALU_DEP_2) | instskip(NEXT) | instid1(VALU_DEP_2)
	v_and_b32_e32 v98, -4, v98
	v_cmpx_ne_u32_e32 0, v8
	s_cbranch_execz .LBB2_40
; %bb.37:
	v_and_b32_e32 v8, 0x800, v30
	s_mov_b32 s2, exec_lo
	s_delay_alu instid0(VALU_DEP_1)
	v_cmpx_eq_u32_e32 0, v8
	s_cbranch_execz .LBB2_39
; %bb.38:
	s_trap 2
	ds_store_b64 v8, v[18:19]
.LBB2_39:
	s_or_b32 exec_lo, exec_lo, s2
	s_wait_loadcnt_dscnt 0x202
	flat_load_b64 v[20:21], v[18:19] offset:56
	s_wait_loadcnt_dscnt 0x0
	flat_load_b64 v[28:29], v[20:21] scope:SCOPE_SYS
	s_clause 0x1
	flat_load_b32 v8, v[18:19] offset:72
	flat_load_b64 v[24:25], v[18:19] offset:16
	s_wait_loadcnt_dscnt 0x101
	v_ashrrev_i32_e32 v22, 3, v8
.LBB2_40:
	s_wait_xcnt 0x0
	s_or_b32 exec_lo, exec_lo, s1
.LBB2_41:
	s_delay_alu instid0(SALU_CYCLE_1)
	s_or_b32 exec_lo, exec_lo, s0
	v_cmp_eq_u32_e64 s0, 0, v0
	s_and_saveexec_b32 s1, s0
	s_cbranch_execz .LBB2_43
; %bb.42:
	flat_load_b64 v[8:9], v[2:3] offset:32
	s_wait_dscnt 0x1
	ds_store_2addr_b64 v33, v[12:13], v[10:11] offset1:1
	s_trap 2
	s_wait_loadcnt_dscnt 0x1
	ds_store_b64 v33, v[8:9]
	ds_store_b64 v33, v[34:35]
.LBB2_43:
	s_wait_xcnt 0x0
	s_or_b32 exec_lo, exec_lo, s1
	v_mov_b64_e32 v[12:13], 0
	s_wait_loadcnt 0x0
	v_and_b32_e32 v72, 0xffff, v23
	s_mov_b32 s57, exec_lo
	v_cmpx_lt_i64_e32 0, v[4:5]
	s_cbranch_execz .LBB2_1276
; %bb.44:
	flat_load_b32 v8, v[2:3] offset:4
	s_wait_xcnt 0x0
	v_and_b32_e32 v2, 0x7ffffc0, v32
	v_dual_mov_b32 v3, 0 :: v_dual_bitop2_b32 v9, 31, v31 bitop3:0x40
	s_ashr_i32 s19, s18, 31
	v_dual_ashrrev_i32 v23, 31, v22 :: v_dual_lshrrev_b32 v32, 5, v1
	s_delay_alu instid0(VALU_DEP_2) | instskip(SKIP_2) | instid1(VALU_DEP_3)
	v_mul_u64_e32 v[48:49], s[18:19], v[2:3]
	v_dual_lshlrev_b32 v10, 3, v1 :: v_dual_lshlrev_b32 v36, 4, v0
	s_ashr_i32 s7, s6, 31
	v_dual_mov_b32 v53, v3 :: v_dual_lshlrev_b32 v54, 8, v32
	s_lshr_b32 s7, s7, 29
	v_dual_mov_b32 v51, v3 :: v_dual_lshlrev_b32 v52, 9, v32
	s_add_co_i32 s13, s6, s7
	v_and_b32_e32 v64, 0xff00, v10
	s_add_co_i32 s58, s18, s18
	s_not_b32 s12, s18
	s_ashr_i32 s13, s13, 6
	s_cmp_gt_i32 s18, 0
	v_mov_b64_e32 v[96:97], v[2:3]
	v_add_nc_u32_e32 v70, 0xffffff00, v54
	s_cselect_b32 s12, s12, -1
	s_lshr_b32 s14, s13, 28
	v_add_nc_u32_e32 v68, 0xfffffe00, v52
	v_add_nc_u32_e32 v80, 0xffffff00, v64
	v_dual_lshrrev_b32 v74, 5, v0 :: v_dual_bitop2_b32 v73, 31, v0 bitop3:0x40
	s_add_co_i32 s28, s12, s58
	s_add_co_i32 s13, s13, s14
	s_ashr_i32 s29, s28, 31
	s_ashr_i32 s59, s13, 4
	s_cmp_gt_i32 s18, 2
	v_ashrrev_i32_e32 v69, 31, v68
	v_ashrrev_i32_e32 v81, 31, v80
	v_cmp_eq_u32_e64 s6, 0, v9
	s_wait_dscnt 0x1
	v_dual_mov_b32 v33, v3 :: v_dual_lshlrev_b32 v9, 4, v73
	s_cselect_b32 s60, -1, 0
	s_add_co_i32 s13, s18, 1
	v_cmp_ge_u32_e32 vcc_lo, v0, v1
	v_mov_b64_e32 v[34:35], 0
	v_cmp_eq_u64_e64 s4, 0, v[26:27]
	v_cmp_ne_u64_e64 s5, 0, v[26:27]
	v_mov_b64_e32 v[38:39], 0
	v_mov_b64_e32 v[12:13], 0
	v_add_nc_u64_e32 v[82:83], 0x200, v[68:69]
	v_add_nc_u64_e32 v[86:87], 0x100, v[80:81]
	v_cmp_eq_u32_e64 s1, 32, v1
	v_cmp_ne_u32_e64 s2, 32, v1
	v_cmp_ne_u32_e64 s3, v1, v72
	v_dual_mov_b32 v75, 1 :: v_dual_mov_b32 v76, 0x90
	v_dual_mov_b32 v77, 0x88 :: v_dual_lshlrev_b32 v50, 10, v32
	v_cmp_eq_u32_e64 s7, 0, v73
	v_cmp_lt_u32_e64 s10, v73, v37
	v_dual_mov_b32 v55, v3 :: v_dual_mov_b32 v65, v3
	v_cmp_le_u32_e64 s11, v73, v37
	v_dual_mov_b32 v37, v3 :: v_dual_mov_b32 v67, v3
	v_lshl_or_b32 v66, v74, 10, v9
	s_mov_b32 s21, 0
	s_mov_b64 s[22:23], 0xffffffff
	s_mov_b64 s[24:25], 0x80000000
	s_add_nc_u64 s[26:27], s[18:19], -1
	s_mov_b32 s73, 0
	s_trap 2
	v_ashrrev_i32_e32 v71, 31, v70
	s_delay_alu instid0(VALU_DEP_1) | instskip(SKIP_2) | instid1(VALU_DEP_1)
	v_add_nc_u64_e32 v[84:85], 0x100, v[70:71]
	s_wait_loadcnt_dscnt 0x0
	v_and_b32_e32 v2, 1, v8
	v_cmp_eq_u32_e64 s12, 1, v2
	s_xor_b32 s61, s12, -1
	s_cmp_ge_i32 s13, s18
	s_cselect_b32 s14, s18, 0
	s_add_co_i32 s62, s18, -2
	s_sub_co_i32 s42, s13, s14
	s_xor_b32 s63, vcc_lo, -1
	s_ashr_i32 s40, s19, 31
	s_sub_co_i32 s72, 0, s18
	s_ashr_i32 s43, s42, 31
	s_branch .LBB2_47
.LBB2_45:                               ;   in Loop: Header=BB2_47 Depth=1
	s_or_b32 exec_lo, exec_lo, s15
.LBB2_46:                               ;   in Loop: Header=BB2_47 Depth=1
	s_delay_alu instid0(SALU_CYCLE_1) | instskip(SKIP_1) | instid1(VALU_DEP_1)
	s_or_b32 exec_lo, exec_lo, s14
	v_add_nc_u64_e32 v[38:39], v[38:39], v[48:49]
	v_cmp_ge_i64_e32 vcc_lo, v[38:39], v[4:5]
	s_or_b32 s73, vcc_lo, s73
	s_delay_alu instid0(SALU_CYCLE_1)
	s_and_not1_b32 exec_lo, exec_lo, s73
	s_cbranch_execz .LBB2_1275
.LBB2_47:                               ; =>This Loop Header: Depth=1
                                        ;     Child Loop BB2_57 Depth 2
                                        ;       Child Loop BB2_65 Depth 3
                                        ;       Child Loop BB2_89 Depth 3
	;; [unrolled: 1-line block ×9, first 2 shown]
                                        ;     Child Loop BB2_201 Depth 2
                                        ;       Child Loop BB2_207 Depth 3
                                        ;       Child Loop BB2_231 Depth 3
	;; [unrolled: 1-line block ×3, first 2 shown]
                                        ;     Child Loop BB2_275 Depth 2
                                        ;       Child Loop BB2_278 Depth 3
                                        ;         Child Loop BB2_286 Depth 4
                                        ;         Child Loop BB2_314 Depth 4
	;; [unrolled: 1-line block ×9, first 2 shown]
                                        ;       Child Loop BB2_424 Depth 3
                                        ;         Child Loop BB2_430 Depth 4
                                        ;         Child Loop BB2_458 Depth 4
	;; [unrolled: 1-line block ×3, first 2 shown]
                                        ;     Child Loop BB2_499 Depth 2
                                        ;       Child Loop BB2_507 Depth 3
                                        ;       Child Loop BB2_535 Depth 3
	;; [unrolled: 1-line block ×4, first 2 shown]
                                        ;         Child Loop BB2_589 Depth 4
                                        ;       Child Loop BB2_600 Depth 3
                                        ;         Child Loop BB2_601 Depth 4
                                        ;       Child Loop BB2_615 Depth 3
	;; [unrolled: 2-line block ×4, first 2 shown]
                                        ;       Child Loop BB2_658 Depth 3
                                        ;       Child Loop BB2_671 Depth 3
	;; [unrolled: 1-line block ×5, first 2 shown]
                                        ;     Child Loop BB2_728 Depth 2
                                        ;       Child Loop BB2_734 Depth 3
                                        ;       Child Loop BB2_762 Depth 3
	;; [unrolled: 1-line block ×3, first 2 shown]
                                        ;     Child Loop BB2_803 Depth 2
                                        ;       Child Loop BB2_806 Depth 3
                                        ;         Child Loop BB2_814 Depth 4
                                        ;         Child Loop BB2_842 Depth 4
	;; [unrolled: 1-line block ×4, first 2 shown]
                                        ;           Child Loop BB2_889 Depth 5
                                        ;         Child Loop BB2_895 Depth 4
                                        ;           Child Loop BB2_896 Depth 5
                                        ;         Child Loop BB2_905 Depth 4
	;; [unrolled: 2-line block ×4, first 2 shown]
                                        ;         Child Loop BB2_930 Depth 4
                                        ;         Child Loop BB2_938 Depth 4
	;; [unrolled: 1-line block ×5, first 2 shown]
                                        ;       Child Loop BB2_991 Depth 3
                                        ;         Child Loop BB2_997 Depth 4
                                        ;         Child Loop BB2_1025 Depth 4
	;; [unrolled: 1-line block ×3, first 2 shown]
                                        ;     Child Loop BB2_1069 Depth 2
                                        ;       Child Loop BB2_1077 Depth 3
                                        ;       Child Loop BB2_1101 Depth 3
	;; [unrolled: 1-line block ×9, first 2 shown]
                                        ;     Child Loop BB2_1209 Depth 2
                                        ;       Child Loop BB2_1215 Depth 3
                                        ;       Child Loop BB2_1239 Depth 3
	;; [unrolled: 1-line block ×3, first 2 shown]
	v_sub_nc_u64_e32 v[100:101], v[4:5], v[38:39]
	s_mov_b32 s16, exec_lo
	s_delay_alu instid0(VALU_DEP_1)
	v_cmpx_lt_i64_e64 v[100:101], v[48:49]
	s_cbranch_execz .LBB2_53
; %bb.48:                               ;   in Loop: Header=BB2_47 Depth=1
	v_add_nc_u64_e32 v[8:9], s[26:27], v[100:101]
	s_delay_alu instid0(VALU_DEP_1) | instskip(NEXT) | instid1(VALU_DEP_1)
	v_dual_mov_b32 v10, v3 :: v_dual_bitop2_b32 v11, s19, v9 bitop3:0x54
	v_cmp_ne_u64_e32 vcc_lo, 0, v[10:11]
                                        ; implicit-def: $vgpr10_vgpr11
	s_and_saveexec_b32 s13, vcc_lo
	s_delay_alu instid0(SALU_CYCLE_1)
	s_xor_b32 s17, exec_lo, s13
	s_cbranch_execz .LBB2_50
; %bb.49:                               ;   in Loop: Header=BB2_47 Depth=1
	s_mov_b32 s41, s40
	v_dual_mov_b32 v103, v3 :: v_dual_ashrrev_i32 v10, 31, v9
	s_add_nc_u64 s[14:15], s[18:19], s[40:41]
	v_mov_b32_e32 v115, v3
	s_xor_b64 s[14:15], s[14:15], s[40:41]
	s_delay_alu instid0(VALU_DEP_2) | instskip(SKIP_3) | instid1(VALU_DEP_1)
	v_mov_b32_e32 v11, v10
	s_cvt_f32_u32 s13, s14
	s_cvt_f32_u32 s20, s15
	s_sub_nc_u64 s[46:47], 0, s[14:15]
	v_add_nc_u64_e32 v[8:9], v[8:9], v[10:11]
	s_delay_alu instid0(SALU_CYCLE_1) | instskip(NEXT) | instid1(SALU_CYCLE_3)
	s_fmamk_f32 s13, s20, 0x4f800000, s13
	v_s_rcp_f32 s13, s13
	s_delay_alu instid0(VALU_DEP_1) | instskip(NEXT) | instid1(VALU_DEP_2)
	v_xor_b32_e32 v2, v8, v10
	v_xor_b32_e32 v102, v9, v10
	;; [unrolled: 1-line block ×3, first 2 shown]
	s_delay_alu instid0(TRANS32_DEP_1) | instskip(NEXT) | instid1(SALU_CYCLE_3)
	s_mul_f32 s13, s13, 0x5f7ffffc
	s_mul_f32 s20, s13, 0x2f800000
	s_delay_alu instid0(SALU_CYCLE_3) | instskip(NEXT) | instid1(SALU_CYCLE_3)
	s_trunc_f32 s20, s20
	s_fmamk_f32 s13, s20, 0xcf800000, s13
	s_cvt_u32_f32 s45, s20
	s_delay_alu instid0(SALU_CYCLE_2) | instskip(NEXT) | instid1(SALU_CYCLE_3)
	s_cvt_u32_f32 s44, s13
	s_mul_u64 s[74:75], s[46:47], s[44:45]
	s_delay_alu instid0(SALU_CYCLE_1)
	s_mul_hi_u32 s77, s44, s75
	s_mul_i32 s76, s44, s75
	s_mul_hi_u32 s20, s44, s74
	s_mul_i32 s41, s45, s74
	s_add_nc_u64 s[76:77], s[20:21], s[76:77]
	s_mul_hi_u32 s13, s45, s74
	s_mul_hi_u32 s78, s45, s75
	s_add_co_u32 s20, s76, s41
	s_add_co_ci_u32 s20, s77, s13
	s_mul_i32 s74, s45, s75
	s_add_co_ci_u32 s75, s78, 0
	s_delay_alu instid0(SALU_CYCLE_1) | instskip(NEXT) | instid1(SALU_CYCLE_1)
	s_add_nc_u64 s[74:75], s[20:21], s[74:75]
	s_add_co_u32 s44, s44, s74
	s_cselect_b32 s13, -1, 0
	s_delay_alu instid0(SALU_CYCLE_1) | instskip(SKIP_1) | instid1(SALU_CYCLE_1)
	s_cmp_lg_u32 s13, 0
	s_add_co_ci_u32 s45, s45, s75
	s_mul_u64 s[46:47], s[46:47], s[44:45]
	s_delay_alu instid0(SALU_CYCLE_1)
	s_mul_hi_u32 s75, s44, s47
	s_mul_i32 s74, s44, s47
	s_mul_hi_u32 s20, s44, s46
	s_mul_i32 s41, s45, s46
	s_add_nc_u64 s[74:75], s[20:21], s[74:75]
	s_mul_hi_u32 s13, s45, s46
	s_mul_hi_u32 s76, s45, s47
	s_add_co_u32 s20, s74, s41
	s_add_co_ci_u32 s20, s75, s13
	s_mul_i32 s46, s45, s47
	s_add_co_ci_u32 s47, s76, 0
	s_delay_alu instid0(SALU_CYCLE_1) | instskip(NEXT) | instid1(SALU_CYCLE_1)
	s_add_nc_u64 s[46:47], s[20:21], s[46:47]
	s_add_co_u32 s44, s44, s46
	s_cselect_b32 s13, -1, 0
	v_mul_hi_u32 v114, v2, s44
	s_cmp_lg_u32 s13, 0
	s_add_co_ci_u32 s20, s45, s47
	s_and_b64 s[46:47], s[44:45], s[22:23]
	v_mul_u64_e32 v[96:97], s[20:21], v[2:3]
	v_mul_u64_e32 v[8:9], s[46:47], v[102:103]
	;; [unrolled: 1-line block ×3, first 2 shown]
	s_delay_alu instid0(VALU_DEP_3) | instskip(NEXT) | instid1(VALU_DEP_1)
	v_add_nc_u64_e32 v[96:97], v[114:115], v[96:97]
	v_add_co_u32 v8, vcc_lo, v96, v8
	s_delay_alu instid0(VALU_DEP_2) | instskip(NEXT) | instid1(VALU_DEP_4)
	v_add_co_ci_u32_e32 v114, vcc_lo, v97, v9, vcc_lo
	v_add_co_ci_u32_e32 v113, vcc_lo, 0, v113, vcc_lo
	s_delay_alu instid0(VALU_DEP_1) | instskip(NEXT) | instid1(VALU_DEP_1)
	v_add_nc_u64_e32 v[8:9], v[114:115], v[112:113]
	v_mul_u64_e32 v[96:97], s[14:15], v[8:9]
	s_delay_alu instid0(VALU_DEP_1) | instskip(NEXT) | instid1(VALU_DEP_2)
	v_sub_nc_u32_e32 v11, v102, v97
	v_sub_co_u32 v2, vcc_lo, v2, v96
	s_delay_alu instid0(VALU_DEP_1) | instskip(NEXT) | instid1(VALU_DEP_3)
	v_sub_co_ci_u32_e64 v112, null, v102, v97, vcc_lo
	v_subrev_co_ci_u32_e64 v11, null, s15, v11, vcc_lo
	s_delay_alu instid0(VALU_DEP_3) | instskip(SKIP_1) | instid1(VALU_DEP_3)
	v_sub_co_u32 v96, s13, v2, s14
	v_add_nc_u64_e32 v[102:103], 1, v[8:9]
	v_subrev_co_ci_u32_e64 v11, null, 0, v11, s13
	s_delay_alu instid0(VALU_DEP_3) | instskip(SKIP_1) | instid1(VALU_DEP_3)
	v_cmp_le_u32_e32 vcc_lo, s14, v96
	v_cndmask_b32_e64 v96, 0, -1, vcc_lo
	v_cmp_le_u32_e32 vcc_lo, s15, v11
	v_cndmask_b32_e64 v97, 0, -1, vcc_lo
	;; [unrolled: 2-line block ×4, first 2 shown]
	v_cmp_eq_u32_e32 vcc_lo, s15, v11
	v_cndmask_b32_e32 v11, v97, v96, vcc_lo
	v_cmp_eq_u32_e32 vcc_lo, s15, v112
	v_add_nc_u64_e32 v[96:97], 2, v[8:9]
	v_cndmask_b32_e32 v2, v113, v2, vcc_lo
	s_delay_alu instid0(VALU_DEP_4) | instskip(NEXT) | instid1(VALU_DEP_2)
	v_cmp_ne_u32_e32 vcc_lo, 0, v11
	v_cmp_ne_u32_e64 s13, 0, v2
	s_delay_alu instid0(VALU_DEP_4) | instskip(NEXT) | instid1(VALU_DEP_1)
	v_dual_cndmask_b32 v11, v103, v97 :: v_dual_cndmask_b32 v2, v102, v96
	v_dual_cndmask_b32 v9, v9, v11, s13 :: v_dual_cndmask_b32 v2, v8, v2, s13
	s_delay_alu instid0(VALU_DEP_1) | instskip(NEXT) | instid1(VALU_DEP_2)
	v_dual_mov_b32 v11, v10 :: v_dual_bitop2_b32 v9, v9, v10 bitop3:0x14
	v_xor_b32_e32 v8, v2, v10
	s_delay_alu instid0(VALU_DEP_1)
	v_sub_nc_u64_e32 v[10:11], v[8:9], v[10:11]
                                        ; implicit-def: $vgpr8_vgpr9
.LBB2_50:                               ;   in Loop: Header=BB2_47 Depth=1
	s_and_not1_saveexec_b32 s13, s17
	s_cbranch_execz .LBB2_52
; %bb.51:                               ;   in Loop: Header=BB2_47 Depth=1
	v_cvt_f32_u32_e32 v2, s18
	s_delay_alu instid0(VALU_DEP_1) | instskip(SKIP_1) | instid1(TRANS32_DEP_1)
	v_rcp_iflag_f32_e32 v2, v2
	v_nop
	v_mul_f32_e32 v2, 0x4f7ffffe, v2
	s_delay_alu instid0(VALU_DEP_1) | instskip(NEXT) | instid1(VALU_DEP_1)
	v_cvt_u32_f32_e32 v2, v2
	v_mul_lo_u32 v9, s72, v2
	s_delay_alu instid0(VALU_DEP_1) | instskip(NEXT) | instid1(VALU_DEP_1)
	v_mul_hi_u32 v9, v2, v9
	v_add_nc_u32_e32 v2, v2, v9
	s_delay_alu instid0(VALU_DEP_1) | instskip(NEXT) | instid1(VALU_DEP_1)
	v_mul_hi_u32 v2, v8, v2
	v_mul_lo_u32 v9, v2, s18
	s_delay_alu instid0(VALU_DEP_1) | instskip(NEXT) | instid1(VALU_DEP_1)
	v_dual_sub_nc_u32 v8, v8, v9 :: v_dual_add_nc_u32 v9, 1, v2
	v_subrev_nc_u32_e32 v10, s18, v8
	v_cmp_le_u32_e32 vcc_lo, s18, v8
	s_delay_alu instid0(VALU_DEP_2) | instskip(NEXT) | instid1(VALU_DEP_1)
	v_dual_cndmask_b32 v8, v8, v10, vcc_lo :: v_dual_cndmask_b32 v2, v2, v9, vcc_lo
	v_cmp_le_u32_e32 vcc_lo, s18, v8
	s_delay_alu instid0(VALU_DEP_2) | instskip(NEXT) | instid1(VALU_DEP_1)
	v_add_nc_u32_e32 v9, 1, v2
	v_cndmask_b32_e32 v2, v2, v9, vcc_lo
	s_delay_alu instid0(VALU_DEP_1)
	v_mov_b64_e32 v[10:11], v[2:3]
.LBB2_52:                               ;   in Loop: Header=BB2_47 Depth=1
	s_or_b32 exec_lo, exec_lo, s13
	s_delay_alu instid0(VALU_DEP_1) | instskip(NEXT) | instid1(VALU_DEP_1)
	v_add_nc_u64_e32 v[96:97], 1, v[10:11]
	v_and_b32_e32 v96, -2, v96
.LBB2_53:                               ;   in Loop: Header=BB2_47 Depth=1
	s_or_b32 exec_lo, exec_lo, s16
	s_delay_alu instid0(VALU_DEP_1) | instskip(SKIP_2) | instid1(VALU_DEP_3)
	v_mul_u64_e32 v[112:113], s[28:29], v[96:97]
	v_add_nc_u64_e32 v[102:103], v[38:39], v[14:15]
	v_mov_b32_e32 v10, 0
	v_sub_nc_u64_e32 v[8:9], v[100:101], v[112:113]
	s_delay_alu instid0(VALU_DEP_1) | instskip(NEXT) | instid1(VALU_DEP_1)
	v_min_i64 v[8:9], v[96:97], v[8:9]
	v_max_i32_e32 v40, 0, v8
	v_cmp_lt_i32_e32 vcc_lo, 0, v8
	s_delay_alu instid0(VALU_DEP_2) | instskip(SKIP_1) | instid1(VALU_DEP_1)
	v_add_nc_u32_e32 v2, 31, v40
	s_and_b32 s13, s63, vcc_lo
	v_lshrrev_b32_e32 v2, 1, v2
	s_delay_alu instid0(VALU_DEP_1) | instskip(NEXT) | instid1(VALU_DEP_1)
	v_and_b32_e32 v9, 0x3ffffff0, v2
	v_dual_mov_b32 v2, 0 :: v_dual_max_i32 v8, s59, v9
	s_and_saveexec_b32 s14, s13
	s_cbranch_execz .LBB2_197
; %bb.54:                               ;   in Loop: Header=BB2_47 Depth=1
	v_mov_b32_e32 v10, 0
	s_mov_b32 s17, 1
	s_mov_b32 s16, -1
	s_mov_b32 s15, 0
	s_branch .LBB2_57
.LBB2_55:                               ;   in Loop: Header=BB2_57 Depth=2
	s_wait_xcnt 0x0
	s_or_b32 exec_lo, exec_lo, s20
	v_add_nc_u64_e32 v[98:99], 2, v[98:99]
	global_wb scope:SCOPE_SYS
	s_wait_storecnt 0x0
	s_wait_loadcnt_dscnt 0x0
	flat_store_b64 v[20:21], v[98:99] scope:SCOPE_SYS
.LBB2_56:                               ;   in Loop: Header=BB2_57 Depth=2
	s_wait_xcnt 0x0
	s_or_b32 exec_lo, exec_lo, s13
	v_dual_add_nc_u32 v10, v8, v10 :: v_dual_mov_b32 v2, s17
	s_xor_b32 s13, s16, -1
	s_mov_b32 s16, 0
	s_mov_b32 s17, 2
	s_delay_alu instid0(VALU_DEP_1) | instskip(SKIP_1) | instid1(SALU_CYCLE_1)
	v_cmp_ge_i32_e32 vcc_lo, v10, v40
	s_or_b32 s13, s13, vcc_lo
	s_and_b32 s13, exec_lo, s13
	s_delay_alu instid0(SALU_CYCLE_1) | instskip(NEXT) | instid1(SALU_CYCLE_1)
	s_or_b32 s15, s13, s15
	s_and_not1_b32 exec_lo, exec_lo, s15
	s_cbranch_execz .LBB2_196
.LBB2_57:                               ;   Parent Loop BB2_47 Depth=1
                                        ; =>  This Loop Header: Depth=2
                                        ;       Child Loop BB2_65 Depth 3
                                        ;       Child Loop BB2_89 Depth 3
	;; [unrolled: 1-line block ×9, first 2 shown]
	s_and_saveexec_b32 s13, s0
	s_cbranch_execz .LBB2_59
; %bb.58:                               ;   in Loop: Header=BB2_57 Depth=2
	s_trap 2
	ds_load_b64 v[114:115], v2
	v_ashrrev_i32_e32 v11, 31, v10
	s_wait_dscnt 0x0
	v_lshl_add_u64 v[114:115], v[102:103], 3, v[114:115]
	s_delay_alu instid0(VALU_DEP_1) | instskip(NEXT) | instid1(VALU_DEP_1)
	v_lshl_add_u64 v[114:115], v[112:113], 3, v[114:115]
	v_lshl_add_u64 v[114:115], v[10:11], 3, v[114:115]
	ds_store_b64 v2, v[114:115]
	ds_store_b64 v2, v[34:35]
.LBB2_59:                               ;   in Loop: Header=BB2_57 Depth=2
	s_or_b32 exec_lo, exec_lo, s13
	v_sub_nc_u32_e32 v2, v40, v10
	v_and_b32_e32 v9, 8, v30
	s_mov_b32 s20, exec_lo
	s_delay_alu instid0(VALU_DEP_2) | instskip(NEXT) | instid1(VALU_DEP_2)
	v_min_i32_e32 v8, v8, v2
	v_cmpx_ne_u32_e32 0, v9
	s_cbranch_execz .LBB2_81
; %bb.60:                               ;   in Loop: Header=BB2_57 Depth=2
	s_wait_loadcnt_dscnt 0x1
	v_add_nc_u64_e32 v[116:117], 8, v[28:29]
	v_add_nc_u64_e32 v[114:115], 2, v[98:99]
	s_mov_b32 s41, exec_lo
	s_delay_alu instid0(VALU_DEP_1)
	v_cmpx_lt_u64_e64 v[116:117], v[114:115]
	s_cbranch_execz .LBB2_72
; %bb.61:                               ;   in Loop: Header=BB2_57 Depth=2
	v_and_b32_e32 v2, 64, v30
	s_mov_b32 s44, 0
	s_mov_b32 s74, 0
                                        ; implicit-def: $sgpr45
                                        ; implicit-def: $sgpr46
                                        ; implicit-def: $sgpr47
	s_delay_alu instid0(VALU_DEP_1)
	v_cmp_eq_u32_e32 vcc_lo, 0, v2
	s_branch .LBB2_65
.LBB2_62:                               ;   in Loop: Header=BB2_65 Depth=3
	s_wait_loadcnt_dscnt 0x0
	v_add_nc_u64_e32 v[116:117], 8, v[28:29]
	s_or_b32 s77, s77, exec_lo
	s_delay_alu instid0(VALU_DEP_1)
	v_cmp_ge_u64_e64 s13, v[116:117], v[114:115]
	s_or_not1_b32 s76, s13, exec_lo
.LBB2_63:                               ;   in Loop: Header=BB2_65 Depth=3
	s_or_b32 exec_lo, exec_lo, s79
	s_delay_alu instid0(SALU_CYCLE_1)
	s_and_not1_b32 s13, s47, exec_lo
	s_and_b32 s47, s77, exec_lo
	s_and_not1_b32 s46, s46, exec_lo
	s_and_b32 s76, s76, exec_lo
	s_or_b32 s47, s13, s47
	s_or_b32 s46, s46, s76
.LBB2_64:                               ;   in Loop: Header=BB2_65 Depth=3
	s_or_b32 exec_lo, exec_lo, s75
	s_delay_alu instid0(SALU_CYCLE_1) | instskip(NEXT) | instid1(SALU_CYCLE_1)
	s_and_b32 s13, exec_lo, s46
	s_or_b32 s44, s13, s44
	s_and_not1_b32 s13, s45, exec_lo
	s_and_b32 s45, s47, exec_lo
	s_delay_alu instid0(SALU_CYCLE_1)
	s_or_b32 s45, s13, s45
	s_and_not1_b32 exec_lo, exec_lo, s44
	s_cbranch_execz .LBB2_69
.LBB2_65:                               ;   Parent Loop BB2_47 Depth=1
                                        ;     Parent Loop BB2_57 Depth=2
                                        ; =>    This Inner Loop Header: Depth=3
	s_sleep 1
	s_wait_loadcnt_dscnt 0x0
	flat_load_b64 v[28:29], v[20:21] scope:SCOPE_SYS
	s_or_b32 s47, s47, exec_lo
	s_or_b32 s46, s46, exec_lo
                                        ; implicit-def: $vgpr2
	s_wait_xcnt 0x0
	s_and_saveexec_b32 s75, vcc_lo
	s_cbranch_execz .LBB2_64
; %bb.66:                               ;   in Loop: Header=BB2_65 Depth=3
	s_cmp_lt_i32 s74, 0x270f
	s_mov_b32 s76, -1
	s_cselect_b32 s78, -1, 0
	s_cmp_gt_i32 s74, 0x270e
	s_cbranch_scc0 .LBB2_68
; %bb.67:                               ;   in Loop: Header=BB2_65 Depth=3
	s_trap 2
	ds_load_b64 v[116:117], v9
	s_and_not1_b32 s74, s78, exec_lo
	s_mov_b32 s77, 0
	s_wait_storecnt 0x0
	s_wait_loadcnt_dscnt 0x0
	flat_load_b32 v2, v[116:117] scope:SCOPE_SYS
	s_wait_loadcnt_dscnt 0x0
	global_inv scope:SCOPE_SYS
	v_cmp_eq_u32_e64 s13, 0, v2
	s_and_b32 s13, s13, exec_lo
	s_delay_alu instid0(SALU_CYCLE_1)
	s_or_b32 s78, s74, s13
	s_mov_b32 s74, 0
	s_and_saveexec_b32 s79, s78
	s_cbranch_execz .LBB2_63
	s_branch .LBB2_62
.LBB2_68:                               ;   in Loop: Header=BB2_65 Depth=3
	s_add_co_i32 s74, s74, 1
	s_mov_b32 s77, -1
                                        ; implicit-def: $vgpr2
	s_and_saveexec_b32 s79, s78
	s_cbranch_execz .LBB2_63
	s_branch .LBB2_62
.LBB2_69:                               ;   in Loop: Header=BB2_57 Depth=2
	s_or_b32 exec_lo, exec_lo, s44
	s_xor_b32 s13, s45, -1
	s_delay_alu instid0(SALU_CYCLE_1) | instskip(NEXT) | instid1(SALU_CYCLE_1)
	s_and_saveexec_b32 s44, s13
	s_xor_b32 s13, exec_lo, s44
	s_cbranch_execz .LBB2_71
; %bb.70:                               ;   in Loop: Header=BB2_57 Depth=2
	v_or_b32_e32 v30, 64, v30
	s_wait_storecnt 0x0
	s_wait_loadcnt_dscnt 0x0
	ds_store_b32 v9, v2
	s_trap 2
.LBB2_71:                               ;   in Loop: Header=BB2_57 Depth=2
	s_or_b32 exec_lo, exec_lo, s13
.LBB2_72:                               ;   in Loop: Header=BB2_57 Depth=2
	s_delay_alu instid0(SALU_CYCLE_1) | instskip(SKIP_3) | instid1(VALU_DEP_1)
	s_or_b32 exec_lo, exec_lo, s41
	v_and_b32_e32 v2, 0x100, v30
	s_mov_b32 s41, 0
	;;#ASMSTART
	s_wakeup
	;;#ASMEND
	v_cmp_ne_u32_e32 vcc_lo, 0, v2
	v_and_b32_e32 v2, 7, v98
                                        ; implicit-def: $vgpr98_vgpr99
	s_and_saveexec_b32 s13, vcc_lo
	s_delay_alu instid0(SALU_CYCLE_1)
	s_xor_b32 s13, exec_lo, s13
	s_cbranch_execz .LBB2_93
; %bb.73:                               ;   in Loop: Header=BB2_57 Depth=2
	s_delay_alu instid0(VALU_DEP_1) | instskip(SKIP_3) | instid1(VALU_DEP_1)
	v_mad_nc_u64_u32 v[116:117], v2, 24, v[6:7]
	v_ashrrev_i32_e32 v9, 31, v8
	s_mov_b32 s41, -1
	s_mov_b32 s44, exec_lo
	v_lshlrev_b64_e32 v[98:99], 3, v[8:9]
	s_clause 0x1
	flat_load_b32 v11, v[116:117]
	flat_store_b64 v[116:117], v[98:99] offset:8
                                        ; implicit-def: $vgpr98_vgpr99
	s_wait_loadcnt_dscnt 0x1
	v_cmpx_eq_u32_e32 1, v11
	s_cbranch_execz .LBB2_75
; %bb.74:                               ;   in Loop: Header=BB2_57 Depth=2
	flat_load_b32 v98, v[116:117] offset:4 scope:SCOPE_SYS
	s_xor_b32 s41, exec_lo, -1
	s_wait_loadcnt_dscnt 0x0
	v_ashrrev_i32_e32 v99, 31, v98
	s_delay_alu instid0(VALU_DEP_1)
	v_lshrrev_b64 v[98:99], 3, v[98:99]
.LBB2_75:                               ;   in Loop: Header=BB2_57 Depth=2
	s_wait_xcnt 0x0
	s_or_b32 exec_lo, exec_lo, s44
	s_delay_alu instid0(SALU_CYCLE_1)
	s_and_b32 s41, s41, exec_lo
	s_and_not1_saveexec_b32 s13, s13
	s_cbranch_execnz .LBB2_94
.LBB2_76:                               ;   in Loop: Header=BB2_57 Depth=2
	s_or_b32 exec_lo, exec_lo, s13
	s_and_saveexec_b32 s13, s41
.LBB2_77:                               ;   in Loop: Header=BB2_57 Depth=2
	v_mul_u64_e32 v[98:99], v[2:3], v[22:23]
.LBB2_78:                               ;   in Loop: Header=BB2_57 Depth=2
	s_or_b32 exec_lo, exec_lo, s13
	v_and_b32_e32 v2, 0x2000, v30
	s_delay_alu instid0(VALU_DEP_2)
	v_lshl_add_u64 v[98:99], v[98:99], 3, v[24:25]
	s_mov_b32 s13, exec_lo
	ds_store_b64 v0, v[98:99] offset:784
	v_cmpx_ne_u32_e32 0, v2
	s_cbranch_execz .LBB2_80
; %bb.79:                               ;   in Loop: Header=BB2_57 Depth=2
	ds_load_b64 v[98:99], v0 offset:872
	s_wait_dscnt 0x0
	v_add_nc_u64_e32 v[98:99], 1, v[98:99]
	ds_store_b64 v0, v[98:99] offset:872
.LBB2_80:                               ;   in Loop: Header=BB2_57 Depth=2
	s_or_b32 exec_lo, exec_lo, s13
	v_mov_b64_e32 v[98:99], v[114:115]
.LBB2_81:                               ;   in Loop: Header=BB2_57 Depth=2
	s_or_b32 exec_lo, exec_lo, s20
	s_and_saveexec_b32 s13, s2
	s_cbranch_execz .LBB2_102
; %bb.82:                               ;   in Loop: Header=BB2_57 Depth=2
	s_and_saveexec_b32 s20, s3
	s_delay_alu instid0(SALU_CYCLE_1)
	s_xor_b32 s20, exec_lo, s20
	s_cbranch_execz .LBB2_99
; %bb.83:                               ;   in Loop: Header=BB2_57 Depth=2
	s_and_saveexec_b32 s41, s6
	s_cbranch_execz .LBB2_98
; %bb.84:                               ;   in Loop: Header=BB2_57 Depth=2
	s_mov_b32 s45, exec_lo
	s_mov_b32 s44, exec_lo
	v_mbcnt_lo_u32_b32 v2, s45, 0
	global_wb scope:SCOPE_DEV
	s_wait_storecnt 0x0
	s_wait_loadcnt_dscnt 0x0
	global_inv scope:SCOPE_DEV
	v_cmpx_eq_u32_e32 0, v2
	s_cbranch_execz .LBB2_86
; %bb.85:                               ;   in Loop: Header=BB2_57 Depth=2
	s_bcnt1_i32_b32 s45, s45
	s_delay_alu instid0(SALU_CYCLE_1)
	v_mov_b32_e32 v2, s45
	s_wait_loadcnt 0x0
	ds_add_u64 v2, v[2:3]
	s_trap 2
.LBB2_86:                               ;   in Loop: Header=BB2_57 Depth=2
	s_or_b32 exec_lo, exec_lo, s44
	s_trap 2
	ds_load_b64 v[114:115], v2
	s_wait_dscnt 0x0
	v_add_nc_u64_e32 v[12:13], v[12:13], v[32:33]
	s_mov_b32 s44, exec_lo
	s_delay_alu instid0(VALU_DEP_1)
	v_cmpx_lt_u64_e64 v[114:115], v[12:13]
	s_cbranch_execz .LBB2_97
; %bb.87:                               ;   in Loop: Header=BB2_57 Depth=2
	s_mov_b32 s45, 0
	s_mov_b32 s74, 0
                                        ; implicit-def: $sgpr46
                                        ; implicit-def: $sgpr47
	s_branch .LBB2_89
.LBB2_88:                               ;   in Loop: Header=BB2_89 Depth=3
	s_or_b32 exec_lo, exec_lo, s76
	s_delay_alu instid0(SALU_CYCLE_1) | instskip(NEXT) | instid1(SALU_CYCLE_1)
	s_and_b32 s75, exec_lo, s77
	s_or_b32 s45, s75, s45
	s_and_not1_b32 s46, s46, exec_lo
	s_and_b32 s75, s47, exec_lo
	s_delay_alu instid0(SALU_CYCLE_1)
	s_or_b32 s46, s46, s75
	s_and_not1_b32 exec_lo, exec_lo, s45
	s_cbranch_execz .LBB2_95
.LBB2_89:                               ;   Parent Loop BB2_47 Depth=1
                                        ;     Parent Loop BB2_57 Depth=2
                                        ; =>    This Inner Loop Header: Depth=3
	s_add_co_i32 s74, s74, 1
	s_delay_alu instid0(SALU_CYCLE_1) | instskip(SKIP_1) | instid1(SALU_CYCLE_1)
	s_cmp_lg_u32 s74, 0x2710
	s_cselect_b32 s75, -1, 0
	s_and_b32 vcc_lo, exec_lo, s75
	s_cbranch_vccz .LBB2_91
; %bb.90:                               ;   in Loop: Header=BB2_89 Depth=3
	s_mov_b32 s77, -1
	s_or_b32 s47, s47, exec_lo
	s_and_saveexec_b32 s76, s75
	s_cbranch_execz .LBB2_88
	s_branch .LBB2_92
.LBB2_91:                               ;   in Loop: Header=BB2_89 Depth=3
	s_trap 2
	ds_load_b64 v[114:115], v2
	s_and_not1_b32 s75, s75, exec_lo
	s_mov_b32 s74, 0
	s_wait_loadcnt_dscnt 0x0
	flat_load_b32 v2, v[114:115] scope:SCOPE_SYS
	s_wait_loadcnt_dscnt 0x0
	global_inv scope:SCOPE_SYS
	v_cmp_eq_u32_e32 vcc_lo, 0, v2
	s_and_b32 s76, vcc_lo, exec_lo
	s_delay_alu instid0(SALU_CYCLE_1)
	s_or_b32 s75, s75, s76
	s_mov_b32 s77, -1
	s_or_b32 s47, s47, exec_lo
	s_and_saveexec_b32 s76, s75
	s_cbranch_execz .LBB2_88
.LBB2_92:                               ;   in Loop: Header=BB2_89 Depth=3
	s_sleep 1
	s_trap 2
	ds_load_b64 v[114:115], v2
	s_wait_dscnt 0x0
	s_and_not1_b32 s47, s47, exec_lo
	v_cmp_ge_u64_e32 vcc_lo, v[114:115], v[12:13]
	s_or_not1_b32 s77, vcc_lo, exec_lo
	s_branch .LBB2_88
.LBB2_93:                               ;   in Loop: Header=BB2_57 Depth=2
	s_and_not1_saveexec_b32 s13, s13
	s_cbranch_execz .LBB2_76
.LBB2_94:                               ;   in Loop: Header=BB2_57 Depth=2
	s_or_b32 s41, s41, exec_lo
	s_or_b32 exec_lo, exec_lo, s13
	s_and_saveexec_b32 s13, s41
	s_cbranch_execnz .LBB2_77
	s_branch .LBB2_78
.LBB2_95:                               ;   in Loop: Header=BB2_57 Depth=2
	s_or_b32 exec_lo, exec_lo, s45
	s_and_saveexec_b32 s45, s46
	s_delay_alu instid0(SALU_CYCLE_1)
	s_xor_b32 s45, exec_lo, s45
	s_cbranch_execz .LBB2_97
; %bb.96:                               ;   in Loop: Header=BB2_57 Depth=2
	ds_store_b32 v2, v75
	s_trap 2
.LBB2_97:                               ;   in Loop: Header=BB2_57 Depth=2
	s_or_b32 exec_lo, exec_lo, s44
	;;#ASMSTART
	s_wakeup
	;;#ASMEND
.LBB2_98:                               ;   in Loop: Header=BB2_57 Depth=2
	s_or_b32 exec_lo, exec_lo, s41
.LBB2_99:                               ;   in Loop: Header=BB2_57 Depth=2
	s_and_not1_saveexec_b32 s20, s20
	s_cbranch_execz .LBB2_101
; %bb.100:                              ;   in Loop: Header=BB2_57 Depth=2
	global_wb scope:SCOPE_DEV
	s_wait_storecnt 0x0
	s_wait_loadcnt_dscnt 0x0
	global_inv scope:SCOPE_DEV
	s_barrier_signal -1
	s_barrier_wait -1
.LBB2_101:                              ;   in Loop: Header=BB2_57 Depth=2
	s_or_b32 exec_lo, exec_lo, s20
.LBB2_102:                              ;   in Loop: Header=BB2_57 Depth=2
	s_delay_alu instid0(SALU_CYCLE_1) | instskip(SKIP_4) | instid1(VALU_DEP_1)
	s_or_b32 exec_lo, exec_lo, s13
	s_trap 2
	ds_load_b32 v9, v2
	v_and_b32_e32 v2, 0x4000, v30
	s_xor_b32 s13, s1, -1
	v_cmp_ne_u32_e32 vcc_lo, 0, v2
	s_and_b32 s20, s13, vcc_lo
	s_delay_alu instid0(SALU_CYCLE_1)
	s_and_saveexec_b32 s13, s20
	s_cbranch_execz .LBB2_121
; %bb.103:                              ;   in Loop: Header=BB2_57 Depth=2
	s_and_saveexec_b32 s20, s3
	s_delay_alu instid0(SALU_CYCLE_1)
	s_xor_b32 s20, exec_lo, s20
	s_cbranch_execz .LBB2_118
; %bb.104:                              ;   in Loop: Header=BB2_57 Depth=2
	s_and_saveexec_b32 s41, s6
	s_cbranch_execz .LBB2_117
; %bb.105:                              ;   in Loop: Header=BB2_57 Depth=2
	s_mov_b32 s45, exec_lo
	s_mov_b32 s44, exec_lo
	v_mbcnt_lo_u32_b32 v2, s45, 0
	global_wb scope:SCOPE_DEV
	s_wait_storecnt 0x0
	s_wait_loadcnt_dscnt 0x0
	global_inv scope:SCOPE_DEV
	v_cmpx_eq_u32_e32 0, v2
	s_cbranch_execz .LBB2_107
; %bb.106:                              ;   in Loop: Header=BB2_57 Depth=2
	s_bcnt1_i32_b32 s45, s45
	s_delay_alu instid0(SALU_CYCLE_1)
	v_mov_b32_e32 v2, s45
	s_wait_loadcnt 0x0
	ds_add_u64 v2, v[2:3]
	s_trap 2
.LBB2_107:                              ;   in Loop: Header=BB2_57 Depth=2
	s_or_b32 exec_lo, exec_lo, s44
	s_trap 2
	ds_load_b64 v[114:115], v2
	s_wait_dscnt 0x0
	v_add_nc_u64_e32 v[12:13], v[12:13], v[32:33]
	s_mov_b32 s44, exec_lo
	s_delay_alu instid0(VALU_DEP_1)
	v_cmpx_lt_u64_e64 v[114:115], v[12:13]
	s_cbranch_execz .LBB2_116
; %bb.108:                              ;   in Loop: Header=BB2_57 Depth=2
	s_mov_b32 s45, 0
	s_mov_b32 s74, 0
                                        ; implicit-def: $sgpr46
                                        ; implicit-def: $sgpr47
	s_branch .LBB2_110
.LBB2_109:                              ;   in Loop: Header=BB2_110 Depth=3
	s_or_b32 exec_lo, exec_lo, s76
	s_delay_alu instid0(SALU_CYCLE_1) | instskip(NEXT) | instid1(SALU_CYCLE_1)
	s_and_b32 s75, exec_lo, s77
	s_or_b32 s45, s75, s45
	s_and_not1_b32 s46, s46, exec_lo
	s_and_b32 s75, s47, exec_lo
	s_delay_alu instid0(SALU_CYCLE_1)
	s_or_b32 s46, s46, s75
	s_and_not1_b32 exec_lo, exec_lo, s45
	s_cbranch_execz .LBB2_114
.LBB2_110:                              ;   Parent Loop BB2_47 Depth=1
                                        ;     Parent Loop BB2_57 Depth=2
                                        ; =>    This Inner Loop Header: Depth=3
	s_add_co_i32 s74, s74, 1
	s_delay_alu instid0(SALU_CYCLE_1) | instskip(SKIP_1) | instid1(SALU_CYCLE_1)
	s_cmp_lg_u32 s74, 0x2710
	s_cselect_b32 s75, -1, 0
	s_and_b32 vcc_lo, exec_lo, s75
	s_cbranch_vccz .LBB2_112
; %bb.111:                              ;   in Loop: Header=BB2_110 Depth=3
	s_mov_b32 s77, -1
	s_or_b32 s47, s47, exec_lo
	s_and_saveexec_b32 s76, s75
	s_cbranch_execz .LBB2_109
	s_branch .LBB2_113
.LBB2_112:                              ;   in Loop: Header=BB2_110 Depth=3
	s_trap 2
	ds_load_b64 v[114:115], v2
	s_and_not1_b32 s75, s75, exec_lo
	s_mov_b32 s74, 0
	s_wait_loadcnt_dscnt 0x0
	flat_load_b32 v2, v[114:115] scope:SCOPE_SYS
	s_wait_loadcnt_dscnt 0x0
	global_inv scope:SCOPE_SYS
	v_cmp_eq_u32_e32 vcc_lo, 0, v2
	s_and_b32 s76, vcc_lo, exec_lo
	s_delay_alu instid0(SALU_CYCLE_1)
	s_or_b32 s75, s75, s76
	s_mov_b32 s77, -1
	s_or_b32 s47, s47, exec_lo
	s_and_saveexec_b32 s76, s75
	s_cbranch_execz .LBB2_109
.LBB2_113:                              ;   in Loop: Header=BB2_110 Depth=3
	s_sleep 1
	s_trap 2
	ds_load_b64 v[114:115], v2
	s_wait_dscnt 0x0
	s_and_not1_b32 s47, s47, exec_lo
	v_cmp_ge_u64_e32 vcc_lo, v[114:115], v[12:13]
	s_or_not1_b32 s77, vcc_lo, exec_lo
	s_branch .LBB2_109
.LBB2_114:                              ;   in Loop: Header=BB2_57 Depth=2
	s_or_b32 exec_lo, exec_lo, s45
	s_and_saveexec_b32 s45, s46
	s_delay_alu instid0(SALU_CYCLE_1)
	s_xor_b32 s45, exec_lo, s45
	s_cbranch_execz .LBB2_116
; %bb.115:                              ;   in Loop: Header=BB2_57 Depth=2
	ds_store_b32 v2, v75
	s_trap 2
.LBB2_116:                              ;   in Loop: Header=BB2_57 Depth=2
	s_or_b32 exec_lo, exec_lo, s44
	;;#ASMSTART
	s_wakeup
	;;#ASMEND
.LBB2_117:                              ;   in Loop: Header=BB2_57 Depth=2
	s_or_b32 exec_lo, exec_lo, s41
.LBB2_118:                              ;   in Loop: Header=BB2_57 Depth=2
	s_and_not1_saveexec_b32 s20, s20
	s_cbranch_execz .LBB2_120
; %bb.119:                              ;   in Loop: Header=BB2_57 Depth=2
	global_wb scope:SCOPE_DEV
	s_wait_storecnt 0x0
	s_wait_loadcnt_dscnt 0x0
	global_inv scope:SCOPE_DEV
	s_barrier_signal -1
	s_barrier_wait -1
.LBB2_120:                              ;   in Loop: Header=BB2_57 Depth=2
	s_or_b32 exec_lo, exec_lo, s20
.LBB2_121:                              ;   in Loop: Header=BB2_57 Depth=2
	s_delay_alu instid0(SALU_CYCLE_1)
	s_or_b32 exec_lo, exec_lo, s13
	s_trap 2
	ds_load_b64 v[114:115], v2
	s_wait_dscnt 0x0
	v_cmp_eq_u64_e32 vcc_lo, 0, v[114:115]
	s_cbranch_vccnz .LBB2_129
; %bb.122:                              ;   in Loop: Header=BB2_57 Depth=2
	s_trap 2
	ds_load_b64 v[116:117], v2
	s_wait_dscnt 0x0
	v_cmp_eq_u64_e32 vcc_lo, 0, v[116:117]
	s_cbranch_vccnz .LBB2_129
; %bb.123:                              ;   in Loop: Header=BB2_57 Depth=2
	s_mov_b32 s13, -1
	s_and_saveexec_b32 s20, s7
	s_cbranch_execz .LBB2_125
; %bb.124:                              ;   in Loop: Header=BB2_57 Depth=2
	ds_load_b32 v2, v0 offset:720
	s_wait_dscnt 0x0
	v_and_b32_e32 v2, 15, v2
	s_delay_alu instid0(VALU_DEP_1)
	v_cmp_eq_u32_e32 vcc_lo, 0, v2
	s_or_not1_b32 s13, vcc_lo, exec_lo
.LBB2_125:                              ;   in Loop: Header=BB2_57 Depth=2
	s_or_b32 exec_lo, exec_lo, s20
	s_and_saveexec_b32 s20, s10
	s_cbranch_execz .LBB2_127
; %bb.126:                              ;   in Loop: Header=BB2_57 Depth=2
	ds_load_b32 v2, v0 offset:784
	s_wait_dscnt 0x0
	v_and_b32_e32 v2, 15, v2
	s_delay_alu instid0(VALU_DEP_1) | instskip(SKIP_3) | instid1(SALU_CYCLE_1)
	v_cmp_eq_u32_e32 vcc_lo, 0, v2
	s_and_b32 s41, s13, vcc_lo
	s_and_not1_b32 s13, s13, exec_lo
	s_and_b32 s41, s41, exec_lo
	s_or_b32 s13, s13, s41
.LBB2_127:                              ;   in Loop: Header=BB2_57 Depth=2
	s_or_b32 exec_lo, exec_lo, s20
	v_cmp_eq_u32_e32 vcc_lo, 0, v9
	s_xor_b32 s13, s13, -1
	s_delay_alu instid0(SALU_CYCLE_1) | instskip(SKIP_2) | instid1(VALU_DEP_2)
	v_cndmask_b32_e64 v11, 0, 1, s13
	s_mov_b32 s13, -1
	v_cndmask_b32_e32 v2, 0, v8, vcc_lo
	v_cmp_ne_u32_e32 vcc_lo, 0, v11
	s_delay_alu instid0(VALU_DEP_2)
	v_dual_mov_b32 v11, 0 :: v_dual_lshlrev_b32 v9, 3, v2
	s_cbranch_vccz .LBB2_134
; %bb.128:                              ;   in Loop: Header=BB2_57 Depth=2
	v_dual_mov_b32 v118, v0 :: v_dual_mov_b32 v41, v73
	s_and_saveexec_b32 s20, s13
	s_cbranch_execnz .LBB2_147
	s_branch .LBB2_155
.LBB2_129:                              ;   in Loop: Header=BB2_57 Depth=2
	s_mov_b32 s13, 0
	s_and_saveexec_b32 s20, s2
	s_cbranch_execnz .LBB2_156
.LBB2_130:                              ;   in Loop: Header=BB2_57 Depth=2
	s_or_b32 exec_lo, exec_lo, s20
                                        ; implicit-def: $vgpr2
	s_and_saveexec_b32 s20, s12
	s_delay_alu instid0(SALU_CYCLE_1)
	s_xor_b32 s20, exec_lo, s20
	s_cbranch_execz .LBB2_174
.LBB2_131:                              ;   in Loop: Header=BB2_57 Depth=2
	v_and_b32_e32 v2, 16, v30
	s_delay_alu instid0(VALU_DEP_1) | instskip(SKIP_2) | instid1(SALU_CYCLE_1)
	v_cmp_ne_u32_e32 vcc_lo, 0, v2
	v_and_b32_e32 v2, 16, v30
	s_and_b32 s41, vcc_lo, s13
	s_and_saveexec_b32 s13, s41
	s_cbranch_execz .LBB2_133
; %bb.132:                              ;   in Loop: Header=BB2_57 Depth=2
	v_mov_b32_e32 v2, 1
	global_wb scope:SCOPE_SYS
	s_wait_storecnt 0x0
	s_wait_loadcnt_dscnt 0x0
	global_inv scope:SCOPE_SYS
.LBB2_133:                              ;   in Loop: Header=BB2_57 Depth=2
	s_or_b32 exec_lo, exec_lo, s13
	s_and_not1_saveexec_b32 s13, s20
	s_cbranch_execz .LBB2_193
	s_branch .LBB2_175
.LBB2_134:                              ;   in Loop: Header=BB2_57 Depth=2
	s_delay_alu instid0(VALU_DEP_1) | instskip(SKIP_1) | instid1(VALU_DEP_1)
	v_ashrrev_i32_e32 v11, 31, v9
	s_mov_b32 s13, exec_lo
	v_lshrrev_b32_e32 v11, 22, v11
	s_delay_alu instid0(VALU_DEP_1) | instskip(NEXT) | instid1(VALU_DEP_1)
	v_add_nc_u32_e32 v11, v9, v11
	v_ashrrev_i32_e32 v11, 10, v11
	s_delay_alu instid0(VALU_DEP_1) | instskip(NEXT) | instid1(VALU_DEP_1)
	v_sub_nc_u32_e32 v43, v11, v74
	v_cmpx_lt_i32_e32 0, v43
	s_cbranch_execz .LBB2_138
; %bb.135:                              ;   in Loop: Header=BB2_57 Depth=2
	v_mov_b64_e32 v[118:119], v[66:67]
	s_mov_b32 s20, 0
.LBB2_136:                              ;   Parent Loop BB2_47 Depth=1
                                        ;     Parent Loop BB2_57 Depth=2
                                        ; =>    This Inner Loop Header: Depth=3
	s_delay_alu instid0(VALU_DEP_1)
	v_add_nc_u64_e32 v[56:57], v[114:115], v[118:119]
	v_sub_nc_u32_e32 v43, v43, v32
	v_add_nc_u64_e32 v[60:61], v[116:117], v[118:119]
	v_add_nc_u64_e32 v[118:119], v[118:119], v[50:51]
	s_clause 0x1
	global_load_b128 v[44:47], v[56:57], off th:TH_LOAD_NT
	global_load_b128 v[56:59], v[56:57], off offset:512 th:TH_LOAD_NT
	v_cmp_gt_i32_e32 vcc_lo, 1, v43
	s_wait_loadcnt 0x1
	global_store_b128 v[60:61], v[44:47], off th:TH_STORE_NT
	s_wait_loadcnt 0x0
	global_store_b128 v[60:61], v[56:59], off offset:512 th:TH_STORE_NT
	s_or_b32 s20, vcc_lo, s20
	s_wait_xcnt 0x0
	s_and_not1_b32 exec_lo, exec_lo, s20
	s_cbranch_execnz .LBB2_136
; %bb.137:                              ;   in Loop: Header=BB2_57 Depth=2
	s_or_b32 exec_lo, exec_lo, s20
.LBB2_138:                              ;   in Loop: Header=BB2_57 Depth=2
	s_delay_alu instid0(SALU_CYCLE_1) | instskip(SKIP_3) | instid1(VALU_DEP_1)
	s_or_b32 exec_lo, exec_lo, s13
	v_dual_mov_b32 v11, 0 :: v_dual_lshlrev_b32 v42, 10, v11
	s_mov_b32 s13, 0
	s_mov_b32 s20, exec_lo
                                        ; implicit-def: $vgpr118
                                        ; implicit-def: $vgpr41
	v_cmpx_ne_u32_e64 v9, v42
	s_cbranch_execz .LBB2_146
; %bb.139:                              ;   in Loop: Header=BB2_57 Depth=2
	v_dual_lshlrev_b32 v11, 5, v43 :: v_dual_sub_nc_u32 v119, v9, v42
	s_mov_b32 s41, exec_lo
	s_delay_alu instid0(VALU_DEP_1) | instskip(NEXT) | instid1(VALU_DEP_2)
	v_sub_nc_u32_e32 v11, v73, v11
	v_ashrrev_i32_e32 v41, 31, v119
	s_delay_alu instid0(VALU_DEP_1) | instskip(NEXT) | instid1(VALU_DEP_1)
	v_dual_ashrrev_i32 v118, 31, v11 :: v_dual_lshrrev_b32 v41, 23, v41
	v_lshrrev_b32_e32 v118, 27, v118
	s_delay_alu instid0(VALU_DEP_1) | instskip(NEXT) | instid1(VALU_DEP_1)
	v_add_nc_u32_e32 v118, v11, v118
	v_dual_add_nc_u32 v41, v119, v41 :: v_dual_ashrrev_i32 v46, 5, v118
	v_and_b32_e32 v43, 0xffffffe0, v118
	s_delay_alu instid0(VALU_DEP_1) | instskip(NEXT) | instid1(VALU_DEP_3)
	v_sub_nc_u32_e32 v44, v11, v43
	v_and_b32_e32 v43, 0xfffffe00, v41
	s_delay_alu instid0(VALU_DEP_2) | instskip(NEXT) | instid1(VALU_DEP_2)
	v_dual_ashrrev_i32 v41, 9, v41 :: v_dual_lshlrev_b32 v11, 4, v44
	v_sub_nc_u32_e32 v45, v119, v43
	s_delay_alu instid0(VALU_DEP_2) | instskip(NEXT) | instid1(VALU_DEP_2)
	v_lshl_add_u32 v118, v46, 9, v11
	v_cmp_lt_i32_e32 vcc_lo, 15, v45
	s_delay_alu instid0(VALU_DEP_2) | instskip(SKIP_1) | instid1(VALU_DEP_1)
	v_sub_nc_u32_e32 v11, v119, v118
	v_add_co_ci_u32_e64 v41, null, 0, v41, vcc_lo
	v_sub_nc_u32_e32 v46, v41, v46
	s_delay_alu instid0(VALU_DEP_3)
	v_cmpx_lt_i32_e32 15, v11
	s_cbranch_execz .LBB2_143
; %bb.140:                              ;   in Loop: Header=BB2_57 Depth=2
	v_add_nc_u32_e32 v118, v118, v42
	s_mov_b32 s44, 0
	s_delay_alu instid0(VALU_DEP_1)
	v_ashrrev_i32_e32 v119, 31, v118
.LBB2_141:                              ;   Parent Loop BB2_47 Depth=1
                                        ;     Parent Loop BB2_57 Depth=2
                                        ; =>    This Inner Loop Header: Depth=3
	s_delay_alu instid0(VALU_DEP_1) | instskip(SKIP_4) | instid1(VALU_DEP_4)
	v_add_nc_u64_e32 v[56:57], v[114:115], v[118:119]
	v_sub_nc_u32_e32 v11, v11, v52
	v_add_nc_u64_e32 v[60:61], v[116:117], v[118:119]
	v_add_nc_u64_e32 v[118:119], v[118:119], v[52:53]
	v_sub_nc_u32_e32 v46, v46, v32
	v_cmp_gt_i32_e64 s13, 16, v11
	global_load_b128 v[56:59], v[56:57], off th:TH_LOAD_NT
	s_or_b32 s44, s13, s44
	s_wait_loadcnt 0x0
	global_store_b128 v[60:61], v[56:59], off th:TH_STORE_NT
	s_wait_xcnt 0x0
	s_and_not1_b32 exec_lo, exec_lo, s44
	s_cbranch_execnz .LBB2_141
; %bb.142:                              ;   in Loop: Header=BB2_57 Depth=2
	s_or_b32 exec_lo, exec_lo, s44
.LBB2_143:                              ;   in Loop: Header=BB2_57 Depth=2
	s_delay_alu instid0(SALU_CYCLE_1) | instskip(SKIP_3) | instid1(VALU_DEP_1)
	s_or_b32 exec_lo, exec_lo, s41
	v_dual_mov_b32 v11, 0 :: v_dual_bitop2_b32 v119, 8, v9 bitop3:0x40
	s_mov_b32 s41, 0
	s_mov_b32 s44, exec_lo
                                        ; implicit-def: $vgpr118
                                        ; implicit-def: $vgpr41
	v_cndmask_b32_e32 v9, v45, v119, vcc_lo
	s_delay_alu instid0(VALU_DEP_1)
	v_cmpx_ne_u32_e32 0, v9
	s_cbranch_execz .LBB2_145
; %bb.144:                              ;   in Loop: Header=BB2_57 Depth=2
	v_cmp_lt_i32_e64 s13, 0, v46
	s_mov_b32 s41, exec_lo
	v_dual_sub_nc_u32 v119, v45, v119 :: v_dual_cndmask_b32 v11, 0, v32, s13
	s_delay_alu instid0(VALU_DEP_1) | instskip(NEXT) | instid1(VALU_DEP_1)
	v_dual_cndmask_b32 v119, 0, v119, vcc_lo :: v_dual_sub_nc_u32 v11, v11, v46
	v_lshl_add_u32 v118, v11, 5, v44
	s_delay_alu instid0(VALU_DEP_1) | instskip(NEXT) | instid1(VALU_DEP_1)
	v_ashrrev_i32_e32 v11, 31, v118
	v_lshrrev_b32_e32 v11, 27, v11
	s_delay_alu instid0(VALU_DEP_1) | instskip(NEXT) | instid1(VALU_DEP_1)
	v_add_nc_u32_e32 v11, v118, v11
	v_and_b32_e32 v41, 0xffffffe0, v11
	v_add3_u32 v11, v43, v42, v119
	s_delay_alu instid0(VALU_DEP_2)
	v_sub_nc_u32_e32 v41, v118, v41
.LBB2_145:                              ;   in Loop: Header=BB2_57 Depth=2
	s_or_b32 exec_lo, exec_lo, s44
	s_delay_alu instid0(SALU_CYCLE_1)
	s_and_b32 s13, s41, exec_lo
.LBB2_146:                              ;   in Loop: Header=BB2_57 Depth=2
	s_or_b32 exec_lo, exec_lo, s20
	s_and_saveexec_b32 s20, s13
	s_cbranch_execz .LBB2_155
.LBB2_147:                              ;   in Loop: Header=BB2_57 Depth=2
	s_delay_alu instid0(VALU_DEP_1) | instskip(SKIP_1) | instid1(VALU_DEP_1)
	v_dual_ashrrev_i32 v119, 31, v118 :: v_dual_ashrrev_i32 v42, 31, v9
	s_mov_b32 s41, exec_lo
	v_dual_lshrrev_b32 v119, 27, v119 :: v_dual_lshrrev_b32 v42, 24, v42
	s_delay_alu instid0(VALU_DEP_1) | instskip(NEXT) | instid1(VALU_DEP_1)
	v_dual_add_nc_u32 v118, v118, v119 :: v_dual_add_nc_u32 v119, v9, v42
	v_dual_ashrrev_i32 v44, 5, v118 :: v_dual_lshlrev_b32 v118, 3, v41
	s_delay_alu instid0(VALU_DEP_2) | instskip(SKIP_1) | instid1(VALU_DEP_3)
	v_and_b32_e32 v42, 0xffffff00, v119
	v_ashrrev_i32_e32 v119, 8, v119
	v_lshl_add_u32 v118, v44, 8, v118
	s_delay_alu instid0(VALU_DEP_2) | instskip(NEXT) | instid1(VALU_DEP_2)
	v_dual_sub_nc_u32 v43, v9, v42 :: v_dual_sub_nc_u32 v119, v119, v44
	v_sub_nc_u32_e32 v45, v9, v118
	s_delay_alu instid0(VALU_DEP_2) | instskip(NEXT) | instid1(VALU_DEP_3)
	v_cmp_lt_i32_e32 vcc_lo, 7, v43
	v_add_co_ci_u32_e64 v44, null, 0, v119, vcc_lo
	s_delay_alu instid0(VALU_DEP_3)
	v_cmpx_lt_i32_e32 7, v45
	s_cbranch_execz .LBB2_151
; %bb.148:                              ;   in Loop: Header=BB2_57 Depth=2
	v_add_nc_u32_e32 v118, v118, v11
	s_mov_b32 s44, 0
	s_delay_alu instid0(VALU_DEP_1)
	v_ashrrev_i32_e32 v119, 31, v118
.LBB2_149:                              ;   Parent Loop BB2_47 Depth=1
                                        ;     Parent Loop BB2_57 Depth=2
                                        ; =>    This Inner Loop Header: Depth=3
	s_delay_alu instid0(VALU_DEP_1) | instskip(SKIP_3) | instid1(VALU_DEP_3)
	v_add_nc_u64_e32 v[46:47], v[114:115], v[118:119]
	v_dual_sub_nc_u32 v45, v45, v54 :: v_dual_sub_nc_u32 v44, v44, v32
	v_add_nc_u64_e32 v[56:57], v[116:117], v[118:119]
	v_add_nc_u64_e32 v[118:119], v[118:119], v[54:55]
	v_cmp_gt_i32_e64 s13, 8, v45
	flat_load_b64 v[46:47], v[46:47] th:TH_LOAD_NT
	s_or_b32 s44, s13, s44
	s_wait_loadcnt_dscnt 0x0
	flat_store_b64 v[56:57], v[46:47] th:TH_STORE_NT
	s_wait_xcnt 0x0
	s_and_not1_b32 exec_lo, exec_lo, s44
	s_cbranch_execnz .LBB2_149
; %bb.150:                              ;   in Loop: Header=BB2_57 Depth=2
	s_or_b32 exec_lo, exec_lo, s44
.LBB2_151:                              ;   in Loop: Header=BB2_57 Depth=2
	s_delay_alu instid0(SALU_CYCLE_1) | instskip(SKIP_1) | instid1(VALU_DEP_1)
	s_or_b32 exec_lo, exec_lo, s41
	v_and_b32_e32 v118, 7, v9
	v_cndmask_b32_e32 v9, v43, v118, vcc_lo
	s_delay_alu instid0(VALU_DEP_1)
	v_cmp_ne_u32_e64 s13, 0, v9
	s_and_b32 exec_lo, exec_lo, s13
	s_cbranch_execz .LBB2_155
; %bb.152:                              ;   in Loop: Header=BB2_57 Depth=2
	v_cmp_lt_i32_e64 s13, 0, v44
	s_delay_alu instid0(VALU_DEP_1) | instskip(NEXT) | instid1(VALU_DEP_1)
	v_cndmask_b32_e64 v119, 0, v32, s13
	v_sub_nc_u32_e32 v119, v119, v44
	s_delay_alu instid0(VALU_DEP_1) | instskip(NEXT) | instid1(VALU_DEP_1)
	v_lshl_add_u32 v119, v119, 5, v41
	v_ashrrev_i32_e32 v41, 31, v119
	s_delay_alu instid0(VALU_DEP_1) | instskip(NEXT) | instid1(VALU_DEP_1)
	v_lshrrev_b32_e32 v41, 27, v41
	v_add_nc_u32_e32 v41, v119, v41
	s_delay_alu instid0(VALU_DEP_1) | instskip(NEXT) | instid1(VALU_DEP_1)
	v_and_b32_e32 v44, 0x1fffffe0, v41
	v_dual_lshlrev_b32 v41, 3, v41 :: v_dual_sub_nc_u32 v119, v119, v44
	s_delay_alu instid0(VALU_DEP_1) | instskip(NEXT) | instid1(VALU_DEP_1)
	v_and_b32_e32 v41, 0xffffff00, v41
	v_lshl_add_u32 v119, v119, 3, v41
	s_delay_alu instid0(VALU_DEP_1) | instskip(NEXT) | instid1(VALU_DEP_1)
	v_sub_nc_u32_e32 v9, v9, v119
	v_cmp_lt_i32_e64 s13, 7, v9
	s_and_b32 exec_lo, exec_lo, s13
	s_cbranch_execz .LBB2_155
; %bb.153:                              ;   in Loop: Header=BB2_57 Depth=2
	v_dual_sub_nc_u32 v118, v43, v118 :: v_dual_add_nc_u32 v11, v42, v11
	s_mov_b32 s13, 0
	s_delay_alu instid0(VALU_DEP_1) | instskip(NEXT) | instid1(VALU_DEP_1)
	v_cndmask_b32_e32 v118, 0, v118, vcc_lo
	v_add3_u32 v118, v11, v118, v119
	s_delay_alu instid0(VALU_DEP_1)
	v_ashrrev_i32_e32 v119, 31, v118
.LBB2_154:                              ;   Parent Loop BB2_47 Depth=1
                                        ;     Parent Loop BB2_57 Depth=2
                                        ; =>    This Inner Loop Header: Depth=3
	s_delay_alu instid0(VALU_DEP_1) | instskip(SKIP_3) | instid1(VALU_DEP_3)
	v_add_nc_u64_e32 v[42:43], v[114:115], v[118:119]
	v_sub_nc_u32_e32 v9, v9, v64
	v_add_nc_u64_e32 v[44:45], v[116:117], v[118:119]
	v_add_nc_u64_e32 v[118:119], v[118:119], v[54:55]
	v_cmp_gt_i32_e32 vcc_lo, 8, v9
	flat_load_b64 v[42:43], v[42:43] th:TH_LOAD_NT
	s_or_b32 s13, vcc_lo, s13
	s_wait_loadcnt_dscnt 0x0
	flat_store_b64 v[44:45], v[42:43] th:TH_STORE_NT
	s_wait_xcnt 0x0
	s_and_not1_b32 exec_lo, exec_lo, s13
	s_cbranch_execnz .LBB2_154
.LBB2_155:                              ;   in Loop: Header=BB2_57 Depth=2
	s_or_b32 exec_lo, exec_lo, s20
	v_cmp_lt_i32_e64 s13, 0, v2
	s_and_saveexec_b32 s20, s2
	s_cbranch_execz .LBB2_130
.LBB2_156:                              ;   in Loop: Header=BB2_57 Depth=2
	s_and_saveexec_b32 s41, s3
	s_delay_alu instid0(SALU_CYCLE_1)
	s_xor_b32 s41, exec_lo, s41
	s_cbranch_execz .LBB2_171
; %bb.157:                              ;   in Loop: Header=BB2_57 Depth=2
	s_and_saveexec_b32 s44, s6
	s_cbranch_execz .LBB2_170
; %bb.158:                              ;   in Loop: Header=BB2_57 Depth=2
	s_mov_b32 s46, exec_lo
	s_mov_b32 s45, exec_lo
	v_mbcnt_lo_u32_b32 v2, s46, 0
	global_wb scope:SCOPE_DEV
	s_wait_storecnt 0x0
	s_wait_loadcnt_dscnt 0x0
	global_inv scope:SCOPE_DEV
	v_cmpx_eq_u32_e32 0, v2
	s_cbranch_execz .LBB2_160
; %bb.159:                              ;   in Loop: Header=BB2_57 Depth=2
	s_bcnt1_i32_b32 s46, s46
	s_delay_alu instid0(SALU_CYCLE_1)
	v_mov_b32_e32 v2, s46
	s_wait_loadcnt 0x0
	ds_add_u64 v2, v[2:3]
	s_trap 2
.LBB2_160:                              ;   in Loop: Header=BB2_57 Depth=2
	s_or_b32 exec_lo, exec_lo, s45
	s_trap 2
	ds_load_b64 v[114:115], v2
	s_wait_dscnt 0x0
	v_add_nc_u64_e32 v[12:13], v[12:13], v[32:33]
	s_mov_b32 s45, exec_lo
	s_delay_alu instid0(VALU_DEP_1)
	v_cmpx_lt_u64_e64 v[114:115], v[12:13]
	s_cbranch_execz .LBB2_169
; %bb.161:                              ;   in Loop: Header=BB2_57 Depth=2
	s_mov_b32 s46, 0
	s_mov_b32 s75, 0
                                        ; implicit-def: $sgpr47
                                        ; implicit-def: $sgpr74
	s_branch .LBB2_163
.LBB2_162:                              ;   in Loop: Header=BB2_163 Depth=3
	s_or_b32 exec_lo, exec_lo, s77
	s_delay_alu instid0(SALU_CYCLE_1) | instskip(NEXT) | instid1(SALU_CYCLE_1)
	s_and_b32 s76, exec_lo, s78
	s_or_b32 s46, s76, s46
	s_and_not1_b32 s47, s47, exec_lo
	s_and_b32 s76, s74, exec_lo
	s_delay_alu instid0(SALU_CYCLE_1)
	s_or_b32 s47, s47, s76
	s_and_not1_b32 exec_lo, exec_lo, s46
	s_cbranch_execz .LBB2_167
.LBB2_163:                              ;   Parent Loop BB2_47 Depth=1
                                        ;     Parent Loop BB2_57 Depth=2
                                        ; =>    This Inner Loop Header: Depth=3
	s_add_co_i32 s75, s75, 1
	s_delay_alu instid0(SALU_CYCLE_1) | instskip(SKIP_1) | instid1(SALU_CYCLE_1)
	s_cmp_lg_u32 s75, 0x2710
	s_cselect_b32 s76, -1, 0
	s_and_b32 vcc_lo, exec_lo, s76
	s_cbranch_vccz .LBB2_165
; %bb.164:                              ;   in Loop: Header=BB2_163 Depth=3
	s_mov_b32 s78, -1
	s_or_b32 s74, s74, exec_lo
	s_and_saveexec_b32 s77, s76
	s_cbranch_execz .LBB2_162
	s_branch .LBB2_166
.LBB2_165:                              ;   in Loop: Header=BB2_163 Depth=3
	s_trap 2
	ds_load_b64 v[114:115], v2
	s_and_not1_b32 s76, s76, exec_lo
	s_mov_b32 s75, 0
	s_wait_loadcnt_dscnt 0x0
	flat_load_b32 v2, v[114:115] scope:SCOPE_SYS
	s_wait_loadcnt_dscnt 0x0
	global_inv scope:SCOPE_SYS
	v_cmp_eq_u32_e32 vcc_lo, 0, v2
	s_and_b32 s77, vcc_lo, exec_lo
	s_delay_alu instid0(SALU_CYCLE_1)
	s_or_b32 s76, s76, s77
	s_mov_b32 s78, -1
	s_or_b32 s74, s74, exec_lo
	s_and_saveexec_b32 s77, s76
	s_cbranch_execz .LBB2_162
.LBB2_166:                              ;   in Loop: Header=BB2_163 Depth=3
	s_sleep 1
	s_trap 2
	ds_load_b64 v[114:115], v2
	s_wait_dscnt 0x0
	s_and_not1_b32 s74, s74, exec_lo
	v_cmp_ge_u64_e32 vcc_lo, v[114:115], v[12:13]
	s_or_not1_b32 s78, vcc_lo, exec_lo
	s_branch .LBB2_162
.LBB2_167:                              ;   in Loop: Header=BB2_57 Depth=2
	s_or_b32 exec_lo, exec_lo, s46
	s_and_saveexec_b32 s46, s47
	s_delay_alu instid0(SALU_CYCLE_1)
	s_xor_b32 s46, exec_lo, s46
	s_cbranch_execz .LBB2_169
; %bb.168:                              ;   in Loop: Header=BB2_57 Depth=2
	ds_store_b32 v2, v75
	s_trap 2
.LBB2_169:                              ;   in Loop: Header=BB2_57 Depth=2
	s_or_b32 exec_lo, exec_lo, s45
	;;#ASMSTART
	s_wakeup
	;;#ASMEND
.LBB2_170:                              ;   in Loop: Header=BB2_57 Depth=2
	s_or_b32 exec_lo, exec_lo, s44
.LBB2_171:                              ;   in Loop: Header=BB2_57 Depth=2
	s_and_not1_saveexec_b32 s41, s41
	s_cbranch_execz .LBB2_173
; %bb.172:                              ;   in Loop: Header=BB2_57 Depth=2
	global_wb scope:SCOPE_DEV
	s_wait_storecnt 0x0
	s_wait_loadcnt_dscnt 0x0
	global_inv scope:SCOPE_DEV
	s_barrier_signal -1
	s_barrier_wait -1
.LBB2_173:                              ;   in Loop: Header=BB2_57 Depth=2
	s_or_b32 exec_lo, exec_lo, s41
	s_delay_alu instid0(SALU_CYCLE_1) | instskip(SKIP_1) | instid1(SALU_CYCLE_1)
	s_or_b32 exec_lo, exec_lo, s20
                                        ; implicit-def: $vgpr2
	s_and_saveexec_b32 s20, s12
	s_xor_b32 s20, exec_lo, s20
	s_cbranch_execnz .LBB2_131
.LBB2_174:                              ;   in Loop: Header=BB2_57 Depth=2
	s_and_not1_saveexec_b32 s13, s20
	s_cbranch_execz .LBB2_193
.LBB2_175:                              ;   in Loop: Header=BB2_57 Depth=2
	s_and_saveexec_b32 s20, s3
	s_delay_alu instid0(SALU_CYCLE_1)
	s_xor_b32 s20, exec_lo, s20
	s_cbranch_execz .LBB2_190
; %bb.176:                              ;   in Loop: Header=BB2_57 Depth=2
	s_and_saveexec_b32 s41, s6
	s_cbranch_execz .LBB2_189
; %bb.177:                              ;   in Loop: Header=BB2_57 Depth=2
	s_mov_b32 s45, exec_lo
	s_mov_b32 s44, exec_lo
	v_mbcnt_lo_u32_b32 v2, s45, 0
	;;#ASMSTART
	s_waitcnt lgkmcnt(0) vmcnt(0)
	;;#ASMEND
	s_delay_alu instid0(VALU_DEP_1)
	v_cmpx_eq_u32_e32 0, v2
	s_cbranch_execz .LBB2_179
; %bb.178:                              ;   in Loop: Header=BB2_57 Depth=2
	s_bcnt1_i32_b32 s45, s45
	s_delay_alu instid0(SALU_CYCLE_1)
	v_mov_b32_e32 v2, s45
	s_wait_storecnt 0x0
	s_wait_loadcnt_dscnt 0x0
	ds_add_u64 v2, v[2:3]
	s_trap 2
.LBB2_179:                              ;   in Loop: Header=BB2_57 Depth=2
	s_or_b32 exec_lo, exec_lo, s44
	s_trap 2
	ds_load_b64 v[114:115], v2
	s_wait_dscnt 0x0
	v_add_nc_u64_e32 v[12:13], v[12:13], v[32:33]
	s_mov_b32 s44, exec_lo
	s_delay_alu instid0(VALU_DEP_1)
	v_cmpx_lt_u64_e64 v[114:115], v[12:13]
	s_cbranch_execz .LBB2_188
; %bb.180:                              ;   in Loop: Header=BB2_57 Depth=2
	s_mov_b32 s45, 0
	s_mov_b32 s74, 0
                                        ; implicit-def: $sgpr46
                                        ; implicit-def: $sgpr47
	s_branch .LBB2_182
.LBB2_181:                              ;   in Loop: Header=BB2_182 Depth=3
	s_or_b32 exec_lo, exec_lo, s76
	s_delay_alu instid0(SALU_CYCLE_1) | instskip(NEXT) | instid1(SALU_CYCLE_1)
	s_and_b32 s75, exec_lo, s77
	s_or_b32 s45, s75, s45
	s_and_not1_b32 s46, s46, exec_lo
	s_and_b32 s75, s47, exec_lo
	s_delay_alu instid0(SALU_CYCLE_1)
	s_or_b32 s46, s46, s75
	s_and_not1_b32 exec_lo, exec_lo, s45
	s_cbranch_execz .LBB2_186
.LBB2_182:                              ;   Parent Loop BB2_47 Depth=1
                                        ;     Parent Loop BB2_57 Depth=2
                                        ; =>    This Inner Loop Header: Depth=3
	s_add_co_i32 s74, s74, 1
	s_delay_alu instid0(SALU_CYCLE_1) | instskip(SKIP_1) | instid1(SALU_CYCLE_1)
	s_cmp_lg_u32 s74, 0x2710
	s_cselect_b32 s75, -1, 0
	s_and_b32 vcc_lo, exec_lo, s75
	s_cbranch_vccz .LBB2_184
; %bb.183:                              ;   in Loop: Header=BB2_182 Depth=3
	s_mov_b32 s77, -1
	s_or_b32 s47, s47, exec_lo
	s_and_saveexec_b32 s76, s75
	s_cbranch_execz .LBB2_181
	s_branch .LBB2_185
.LBB2_184:                              ;   in Loop: Header=BB2_182 Depth=3
	s_trap 2
	ds_load_b64 v[114:115], v2
	s_and_not1_b32 s75, s75, exec_lo
	s_mov_b32 s74, 0
	s_wait_storecnt 0x0
	s_wait_loadcnt_dscnt 0x0
	flat_load_b32 v2, v[114:115] scope:SCOPE_SYS
	s_wait_loadcnt_dscnt 0x0
	global_inv scope:SCOPE_SYS
	v_cmp_eq_u32_e32 vcc_lo, 0, v2
	s_and_b32 s76, vcc_lo, exec_lo
	s_delay_alu instid0(SALU_CYCLE_1)
	s_or_b32 s75, s75, s76
	s_mov_b32 s77, -1
	s_or_b32 s47, s47, exec_lo
	s_and_saveexec_b32 s76, s75
	s_cbranch_execz .LBB2_181
.LBB2_185:                              ;   in Loop: Header=BB2_182 Depth=3
	s_sleep 1
	s_trap 2
	ds_load_b64 v[114:115], v2
	s_wait_dscnt 0x0
	s_and_not1_b32 s47, s47, exec_lo
	v_cmp_ge_u64_e32 vcc_lo, v[114:115], v[12:13]
	s_or_not1_b32 s77, vcc_lo, exec_lo
	s_branch .LBB2_181
.LBB2_186:                              ;   in Loop: Header=BB2_57 Depth=2
	s_or_b32 exec_lo, exec_lo, s45
	s_and_saveexec_b32 s45, s46
	s_delay_alu instid0(SALU_CYCLE_1)
	s_xor_b32 s45, exec_lo, s45
	s_cbranch_execz .LBB2_188
; %bb.187:                              ;   in Loop: Header=BB2_57 Depth=2
	ds_store_b32 v2, v75
	s_trap 2
.LBB2_188:                              ;   in Loop: Header=BB2_57 Depth=2
	s_or_b32 exec_lo, exec_lo, s44
	;;#ASMSTART
	s_wakeup
	;;#ASMEND
.LBB2_189:                              ;   in Loop: Header=BB2_57 Depth=2
	s_or_b32 exec_lo, exec_lo, s41
.LBB2_190:                              ;   in Loop: Header=BB2_57 Depth=2
	s_and_not1_saveexec_b32 s20, s20
	s_cbranch_execz .LBB2_192
; %bb.191:                              ;   in Loop: Header=BB2_57 Depth=2
	;;#ASMSTART
	s_waitcnt lgkmcnt(0) vmcnt(0)
	;;#ASMEND
	s_barrier_signal -1
	s_barrier_wait -1
.LBB2_192:                              ;   in Loop: Header=BB2_57 Depth=2
	s_or_b32 exec_lo, exec_lo, s20
	v_and_b32_e32 v2, 16, v30
.LBB2_193:                              ;   in Loop: Header=BB2_57 Depth=2
	s_or_b32 exec_lo, exec_lo, s13
	s_delay_alu instid0(SALU_CYCLE_1) | instskip(NEXT) | instid1(VALU_DEP_1)
	s_mov_b32 s13, exec_lo
	v_cmpx_ne_u32_e32 0, v2
	s_cbranch_execz .LBB2_56
; %bb.194:                              ;   in Loop: Header=BB2_57 Depth=2
	s_and_saveexec_b32 s20, s5
	s_cbranch_execz .LBB2_55
; %bb.195:                              ;   in Loop: Header=BB2_57 Depth=2
	global_wb scope:SCOPE_SYS
	s_wait_storecnt 0x0
	s_wait_loadcnt_dscnt 0x0
	flat_store_b32 v[26:27], v75 scope:SCOPE_SYS
	s_branch .LBB2_55
.LBB2_196:                              ;   in Loop: Header=BB2_47 Depth=1
	s_or_b32 exec_lo, exec_lo, s15
.LBB2_197:                              ;   in Loop: Header=BB2_47 Depth=1
	s_delay_alu instid0(SALU_CYCLE_1) | instskip(NEXT) | instid1(SALU_CYCLE_1)
	s_or_b32 exec_lo, exec_lo, s14
	s_mov_b32 s14, exec_lo
	v_cmpx_gt_i32_e32 2, v2
	s_cbranch_execz .LBB2_271
; %bb.198:                              ;   in Loop: Header=BB2_47 Depth=1
	v_cmp_eq_u32_e64 s16, 0, v2
	s_mov_b32 s15, 0
	s_branch .LBB2_201
.LBB2_199:                              ;   in Loop: Header=BB2_201 Depth=2
	s_wait_xcnt 0x0
	s_or_b32 exec_lo, exec_lo, s16
	v_add_nc_u64_e32 v[98:99], 2, v[98:99]
	global_wb scope:SCOPE_SYS
	s_wait_storecnt 0x0
	s_wait_loadcnt_dscnt 0x0
	flat_store_b64 v[20:21], v[98:99] scope:SCOPE_SYS
.LBB2_200:                              ;   in Loop: Header=BB2_201 Depth=2
	s_wait_xcnt 0x0
	s_or_b32 exec_lo, exec_lo, s13
	v_add_nc_u32_e32 v10, v8, v10
	s_mov_b32 s16, 0
	s_and_not1_b32 exec_lo, exec_lo, s15
	s_cbranch_execz .LBB2_270
.LBB2_201:                              ;   Parent Loop BB2_47 Depth=1
                                        ; =>  This Loop Header: Depth=2
                                        ;       Child Loop BB2_207 Depth 3
                                        ;       Child Loop BB2_231 Depth 3
	;; [unrolled: 1-line block ×3, first 2 shown]
	s_delay_alu instid0(VALU_DEP_1) | instskip(SKIP_2) | instid1(VALU_DEP_2)
	v_sub_nc_u32_e32 v2, v40, v10
	v_and_b32_e32 v9, 8, v30
	s_mov_b32 s17, exec_lo
	v_min_i32_e32 v8, v8, v2
	s_delay_alu instid0(VALU_DEP_2)
	v_cmpx_ne_u32_e32 0, v9
	s_cbranch_execz .LBB2_223
; %bb.202:                              ;   in Loop: Header=BB2_201 Depth=2
	s_wait_loadcnt_dscnt 0x1
	v_add_nc_u64_e32 v[114:115], 8, v[28:29]
	v_add_nc_u64_e32 v[112:113], 2, v[98:99]
	s_mov_b32 s20, exec_lo
	s_delay_alu instid0(VALU_DEP_1)
	v_cmpx_lt_u64_e64 v[114:115], v[112:113]
	s_cbranch_execz .LBB2_214
; %bb.203:                              ;   in Loop: Header=BB2_201 Depth=2
	v_and_b32_e32 v2, 64, v30
	s_mov_b32 s41, 0
	s_mov_b32 s47, 0
                                        ; implicit-def: $sgpr44
                                        ; implicit-def: $sgpr45
                                        ; implicit-def: $sgpr46
	s_delay_alu instid0(VALU_DEP_1)
	v_cmp_eq_u32_e32 vcc_lo, 0, v2
	s_branch .LBB2_207
.LBB2_204:                              ;   in Loop: Header=BB2_207 Depth=3
	s_wait_loadcnt_dscnt 0x0
	v_add_nc_u64_e32 v[114:115], 8, v[28:29]
	s_or_b32 s76, s76, exec_lo
	s_delay_alu instid0(VALU_DEP_1)
	v_cmp_ge_u64_e64 s13, v[114:115], v[112:113]
	s_or_not1_b32 s75, s13, exec_lo
.LBB2_205:                              ;   in Loop: Header=BB2_207 Depth=3
	s_or_b32 exec_lo, exec_lo, s78
	s_delay_alu instid0(SALU_CYCLE_1)
	s_and_not1_b32 s13, s46, exec_lo
	s_and_b32 s46, s76, exec_lo
	s_and_not1_b32 s45, s45, exec_lo
	s_and_b32 s75, s75, exec_lo
	s_or_b32 s46, s13, s46
	s_or_b32 s45, s45, s75
.LBB2_206:                              ;   in Loop: Header=BB2_207 Depth=3
	s_or_b32 exec_lo, exec_lo, s74
	s_delay_alu instid0(SALU_CYCLE_1) | instskip(NEXT) | instid1(SALU_CYCLE_1)
	s_and_b32 s13, exec_lo, s45
	s_or_b32 s41, s13, s41
	s_and_not1_b32 s13, s44, exec_lo
	s_and_b32 s44, s46, exec_lo
	s_delay_alu instid0(SALU_CYCLE_1)
	s_or_b32 s44, s13, s44
	s_and_not1_b32 exec_lo, exec_lo, s41
	s_cbranch_execz .LBB2_211
.LBB2_207:                              ;   Parent Loop BB2_47 Depth=1
                                        ;     Parent Loop BB2_201 Depth=2
                                        ; =>    This Inner Loop Header: Depth=3
	s_sleep 1
	s_wait_loadcnt_dscnt 0x0
	flat_load_b64 v[28:29], v[20:21] scope:SCOPE_SYS
	s_or_b32 s46, s46, exec_lo
	s_or_b32 s45, s45, exec_lo
                                        ; implicit-def: $vgpr2
	s_wait_xcnt 0x0
	s_and_saveexec_b32 s74, vcc_lo
	s_cbranch_execz .LBB2_206
; %bb.208:                              ;   in Loop: Header=BB2_207 Depth=3
	s_cmp_lt_i32 s47, 0x270f
	s_mov_b32 s75, -1
	s_cselect_b32 s77, -1, 0
	s_cmp_gt_i32 s47, 0x270e
	s_cbranch_scc0 .LBB2_210
; %bb.209:                              ;   in Loop: Header=BB2_207 Depth=3
	s_trap 2
	ds_load_b64 v[114:115], v9
	s_and_not1_b32 s47, s77, exec_lo
	s_mov_b32 s76, 0
	s_wait_storecnt 0x0
	s_wait_loadcnt_dscnt 0x0
	flat_load_b32 v2, v[114:115] scope:SCOPE_SYS
	s_wait_loadcnt_dscnt 0x0
	global_inv scope:SCOPE_SYS
	v_cmp_eq_u32_e64 s13, 0, v2
	s_and_b32 s13, s13, exec_lo
	s_delay_alu instid0(SALU_CYCLE_1)
	s_or_b32 s77, s47, s13
	s_mov_b32 s47, 0
	s_and_saveexec_b32 s78, s77
	s_cbranch_execz .LBB2_205
	s_branch .LBB2_204
.LBB2_210:                              ;   in Loop: Header=BB2_207 Depth=3
	s_add_co_i32 s47, s47, 1
	s_mov_b32 s76, -1
                                        ; implicit-def: $vgpr2
	s_and_saveexec_b32 s78, s77
	s_cbranch_execz .LBB2_205
	s_branch .LBB2_204
.LBB2_211:                              ;   in Loop: Header=BB2_201 Depth=2
	s_or_b32 exec_lo, exec_lo, s41
	s_xor_b32 s13, s44, -1
	s_delay_alu instid0(SALU_CYCLE_1) | instskip(NEXT) | instid1(SALU_CYCLE_1)
	s_and_saveexec_b32 s41, s13
	s_xor_b32 s13, exec_lo, s41
	s_cbranch_execz .LBB2_213
; %bb.212:                              ;   in Loop: Header=BB2_201 Depth=2
	v_or_b32_e32 v30, 64, v30
	s_wait_storecnt 0x0
	s_wait_loadcnt_dscnt 0x0
	ds_store_b32 v9, v2
	s_trap 2
.LBB2_213:                              ;   in Loop: Header=BB2_201 Depth=2
	s_or_b32 exec_lo, exec_lo, s13
.LBB2_214:                              ;   in Loop: Header=BB2_201 Depth=2
	s_delay_alu instid0(SALU_CYCLE_1) | instskip(SKIP_3) | instid1(VALU_DEP_1)
	s_or_b32 exec_lo, exec_lo, s20
	v_and_b32_e32 v2, 0x100, v30
	s_mov_b32 s20, 0
	;;#ASMSTART
	s_wakeup
	;;#ASMEND
	v_cmp_ne_u32_e32 vcc_lo, 0, v2
	v_and_b32_e32 v2, 7, v98
                                        ; implicit-def: $vgpr98_vgpr99
	s_and_saveexec_b32 s13, vcc_lo
	s_delay_alu instid0(SALU_CYCLE_1)
	s_xor_b32 s13, exec_lo, s13
	s_cbranch_execz .LBB2_235
; %bb.215:                              ;   in Loop: Header=BB2_201 Depth=2
	s_delay_alu instid0(VALU_DEP_1) | instskip(SKIP_3) | instid1(VALU_DEP_1)
	v_mad_nc_u64_u32 v[114:115], v2, 24, v[6:7]
	v_ashrrev_i32_e32 v9, 31, v8
	s_mov_b32 s20, -1
	s_mov_b32 s41, exec_lo
	v_lshlrev_b64_e32 v[98:99], 3, v[8:9]
	s_clause 0x1
	flat_load_b32 v11, v[114:115]
	flat_store_b64 v[114:115], v[98:99] offset:8
                                        ; implicit-def: $vgpr98_vgpr99
	s_wait_loadcnt_dscnt 0x1
	v_cmpx_eq_u32_e32 1, v11
	s_cbranch_execz .LBB2_217
; %bb.216:                              ;   in Loop: Header=BB2_201 Depth=2
	flat_load_b32 v98, v[114:115] offset:4 scope:SCOPE_SYS
	s_xor_b32 s20, exec_lo, -1
	s_wait_loadcnt_dscnt 0x0
	v_ashrrev_i32_e32 v99, 31, v98
	s_delay_alu instid0(VALU_DEP_1)
	v_lshrrev_b64 v[98:99], 3, v[98:99]
.LBB2_217:                              ;   in Loop: Header=BB2_201 Depth=2
	s_wait_xcnt 0x0
	s_or_b32 exec_lo, exec_lo, s41
	s_delay_alu instid0(SALU_CYCLE_1)
	s_and_b32 s20, s20, exec_lo
	s_and_not1_saveexec_b32 s13, s13
	s_cbranch_execnz .LBB2_236
.LBB2_218:                              ;   in Loop: Header=BB2_201 Depth=2
	s_or_b32 exec_lo, exec_lo, s13
	s_and_saveexec_b32 s13, s20
.LBB2_219:                              ;   in Loop: Header=BB2_201 Depth=2
	v_mul_u64_e32 v[98:99], v[2:3], v[22:23]
.LBB2_220:                              ;   in Loop: Header=BB2_201 Depth=2
	s_or_b32 exec_lo, exec_lo, s13
	v_and_b32_e32 v2, 0x2000, v30
	s_delay_alu instid0(VALU_DEP_2)
	v_lshl_add_u64 v[98:99], v[98:99], 3, v[24:25]
	s_mov_b32 s13, exec_lo
	ds_store_b64 v0, v[98:99] offset:784
	v_cmpx_ne_u32_e32 0, v2
	s_cbranch_execz .LBB2_222
; %bb.221:                              ;   in Loop: Header=BB2_201 Depth=2
	ds_load_b64 v[98:99], v0 offset:872
	s_wait_dscnt 0x0
	v_add_nc_u64_e32 v[98:99], 1, v[98:99]
	ds_store_b64 v0, v[98:99] offset:872
.LBB2_222:                              ;   in Loop: Header=BB2_201 Depth=2
	s_or_b32 exec_lo, exec_lo, s13
	v_mov_b64_e32 v[98:99], v[112:113]
.LBB2_223:                              ;   in Loop: Header=BB2_201 Depth=2
	s_or_b32 exec_lo, exec_lo, s17
	s_xor_b32 s13, s16, -1
	s_delay_alu instid0(SALU_CYCLE_1) | instskip(NEXT) | instid1(SALU_CYCLE_1)
	s_and_b32 s13, exec_lo, s13
	s_or_b32 s15, s13, s15
	s_and_saveexec_b32 s13, s2
	s_cbranch_execz .LBB2_244
; %bb.224:                              ;   in Loop: Header=BB2_201 Depth=2
	s_and_saveexec_b32 s16, s3
	s_delay_alu instid0(SALU_CYCLE_1)
	s_xor_b32 s16, exec_lo, s16
	s_cbranch_execz .LBB2_241
; %bb.225:                              ;   in Loop: Header=BB2_201 Depth=2
	s_and_saveexec_b32 s17, s6
	s_cbranch_execz .LBB2_240
; %bb.226:                              ;   in Loop: Header=BB2_201 Depth=2
	s_mov_b32 s41, exec_lo
	s_mov_b32 s20, exec_lo
	v_mbcnt_lo_u32_b32 v2, s41, 0
	global_wb scope:SCOPE_DEV
	s_wait_storecnt 0x0
	s_wait_loadcnt_dscnt 0x0
	global_inv scope:SCOPE_DEV
	v_cmpx_eq_u32_e32 0, v2
	s_cbranch_execz .LBB2_228
; %bb.227:                              ;   in Loop: Header=BB2_201 Depth=2
	s_bcnt1_i32_b32 s41, s41
	s_delay_alu instid0(SALU_CYCLE_1)
	v_mov_b32_e32 v2, s41
	s_wait_loadcnt 0x0
	ds_add_u64 v2, v[2:3]
	s_trap 2
.LBB2_228:                              ;   in Loop: Header=BB2_201 Depth=2
	s_or_b32 exec_lo, exec_lo, s20
	s_trap 2
	ds_load_b64 v[112:113], v2
	s_wait_dscnt 0x0
	v_add_nc_u64_e32 v[12:13], v[12:13], v[32:33]
	s_mov_b32 s20, exec_lo
	s_delay_alu instid0(VALU_DEP_1)
	v_cmpx_lt_u64_e64 v[112:113], v[12:13]
	s_cbranch_execz .LBB2_239
; %bb.229:                              ;   in Loop: Header=BB2_201 Depth=2
	s_mov_b32 s41, 0
	s_mov_b32 s46, 0
                                        ; implicit-def: $sgpr44
                                        ; implicit-def: $sgpr45
	s_branch .LBB2_231
.LBB2_230:                              ;   in Loop: Header=BB2_231 Depth=3
	s_or_b32 exec_lo, exec_lo, s74
	s_delay_alu instid0(SALU_CYCLE_1) | instskip(NEXT) | instid1(SALU_CYCLE_1)
	s_and_b32 s47, exec_lo, s75
	s_or_b32 s41, s47, s41
	s_and_not1_b32 s44, s44, exec_lo
	s_and_b32 s47, s45, exec_lo
	s_delay_alu instid0(SALU_CYCLE_1)
	s_or_b32 s44, s44, s47
	s_and_not1_b32 exec_lo, exec_lo, s41
	s_cbranch_execz .LBB2_237
.LBB2_231:                              ;   Parent Loop BB2_47 Depth=1
                                        ;     Parent Loop BB2_201 Depth=2
                                        ; =>    This Inner Loop Header: Depth=3
	s_add_co_i32 s46, s46, 1
	s_delay_alu instid0(SALU_CYCLE_1) | instskip(SKIP_1) | instid1(SALU_CYCLE_1)
	s_cmp_lg_u32 s46, 0x2710
	s_cselect_b32 s47, -1, 0
	s_and_b32 vcc_lo, exec_lo, s47
	s_cbranch_vccz .LBB2_233
; %bb.232:                              ;   in Loop: Header=BB2_231 Depth=3
	s_mov_b32 s75, -1
	s_or_b32 s45, s45, exec_lo
	s_and_saveexec_b32 s74, s47
	s_cbranch_execz .LBB2_230
	s_branch .LBB2_234
.LBB2_233:                              ;   in Loop: Header=BB2_231 Depth=3
	s_trap 2
	ds_load_b64 v[112:113], v2
	s_and_not1_b32 s47, s47, exec_lo
	s_mov_b32 s46, 0
	s_wait_loadcnt_dscnt 0x0
	flat_load_b32 v2, v[112:113] scope:SCOPE_SYS
	s_wait_loadcnt_dscnt 0x0
	global_inv scope:SCOPE_SYS
	v_cmp_eq_u32_e32 vcc_lo, 0, v2
	s_and_b32 s74, vcc_lo, exec_lo
	s_delay_alu instid0(SALU_CYCLE_1)
	s_or_b32 s47, s47, s74
	s_mov_b32 s75, -1
	s_or_b32 s45, s45, exec_lo
	s_and_saveexec_b32 s74, s47
	s_cbranch_execz .LBB2_230
.LBB2_234:                              ;   in Loop: Header=BB2_231 Depth=3
	s_sleep 1
	s_trap 2
	ds_load_b64 v[112:113], v2
	s_wait_dscnt 0x0
	s_and_not1_b32 s45, s45, exec_lo
	v_cmp_ge_u64_e32 vcc_lo, v[112:113], v[12:13]
	s_or_not1_b32 s75, vcc_lo, exec_lo
	s_branch .LBB2_230
.LBB2_235:                              ;   in Loop: Header=BB2_201 Depth=2
	s_and_not1_saveexec_b32 s13, s13
	s_cbranch_execz .LBB2_218
.LBB2_236:                              ;   in Loop: Header=BB2_201 Depth=2
	s_or_b32 s20, s20, exec_lo
	s_or_b32 exec_lo, exec_lo, s13
	s_and_saveexec_b32 s13, s20
	s_cbranch_execnz .LBB2_219
	s_branch .LBB2_220
.LBB2_237:                              ;   in Loop: Header=BB2_201 Depth=2
	s_or_b32 exec_lo, exec_lo, s41
	s_and_saveexec_b32 s41, s44
	s_delay_alu instid0(SALU_CYCLE_1)
	s_xor_b32 s41, exec_lo, s41
	s_cbranch_execz .LBB2_239
; %bb.238:                              ;   in Loop: Header=BB2_201 Depth=2
	ds_store_b32 v2, v75
	s_trap 2
.LBB2_239:                              ;   in Loop: Header=BB2_201 Depth=2
	s_or_b32 exec_lo, exec_lo, s20
	;;#ASMSTART
	s_wakeup
	;;#ASMEND
.LBB2_240:                              ;   in Loop: Header=BB2_201 Depth=2
	s_or_b32 exec_lo, exec_lo, s17
.LBB2_241:                              ;   in Loop: Header=BB2_201 Depth=2
	s_and_not1_saveexec_b32 s16, s16
	s_cbranch_execz .LBB2_243
; %bb.242:                              ;   in Loop: Header=BB2_201 Depth=2
	global_wb scope:SCOPE_DEV
	s_wait_storecnt 0x0
	s_wait_loadcnt_dscnt 0x0
	global_inv scope:SCOPE_DEV
	s_barrier_signal -1
	s_barrier_wait -1
.LBB2_243:                              ;   in Loop: Header=BB2_201 Depth=2
	s_or_b32 exec_lo, exec_lo, s16
.LBB2_244:                              ;   in Loop: Header=BB2_201 Depth=2
	s_delay_alu instid0(SALU_CYCLE_1) | instskip(SKIP_1) | instid1(SALU_CYCLE_1)
	s_or_b32 exec_lo, exec_lo, s13
                                        ; implicit-def: $vgpr2
	s_and_saveexec_b32 s13, s12
	s_xor_b32 s16, exec_lo, s13
	s_cbranch_execz .LBB2_248
; %bb.245:                              ;   in Loop: Header=BB2_201 Depth=2
	s_trap 2
	ds_load_b32 v2, v9
	v_cmp_lt_i32_e32 vcc_lo, 0, v8
	s_wait_dscnt 0x0
	v_readfirstlane_b32 s13, v2
	v_and_b32_e32 v2, 16, v30
	s_cmp_eq_u32 s13, 0
	s_delay_alu instid0(VALU_DEP_1) | instskip(SKIP_3) | instid1(SALU_CYCLE_1)
	v_cmp_ne_u32_e64 s13, 0, v2
	s_cselect_b32 s17, -1, 0
	v_and_b32_e32 v2, 16, v30
	s_and_b32 s17, vcc_lo, s17
	s_and_b32 s17, s13, s17
	s_delay_alu instid0(SALU_CYCLE_1)
	s_and_saveexec_b32 s13, s17
	s_cbranch_execz .LBB2_247
; %bb.246:                              ;   in Loop: Header=BB2_201 Depth=2
	v_mov_b32_e32 v2, 1
	global_wb scope:SCOPE_SYS
	s_wait_loadcnt 0x0
	s_wait_storecnt 0x0
	global_inv scope:SCOPE_SYS
.LBB2_247:                              ;   in Loop: Header=BB2_201 Depth=2
	s_or_b32 exec_lo, exec_lo, s13
	s_and_not1_saveexec_b32 s13, s16
	s_cbranch_execz .LBB2_267
	s_branch .LBB2_249
.LBB2_248:                              ;   in Loop: Header=BB2_201 Depth=2
	s_and_not1_saveexec_b32 s13, s16
	s_cbranch_execz .LBB2_267
.LBB2_249:                              ;   in Loop: Header=BB2_201 Depth=2
	s_and_saveexec_b32 s16, s3
	s_delay_alu instid0(SALU_CYCLE_1)
	s_xor_b32 s16, exec_lo, s16
	s_cbranch_execz .LBB2_264
; %bb.250:                              ;   in Loop: Header=BB2_201 Depth=2
	s_and_saveexec_b32 s17, s6
	s_cbranch_execz .LBB2_263
; %bb.251:                              ;   in Loop: Header=BB2_201 Depth=2
	s_mov_b32 s41, exec_lo
	s_mov_b32 s20, exec_lo
	v_mbcnt_lo_u32_b32 v2, s41, 0
	;;#ASMSTART
	s_waitcnt lgkmcnt(0) vmcnt(0)
	;;#ASMEND
	s_delay_alu instid0(VALU_DEP_1)
	v_cmpx_eq_u32_e32 0, v2
	s_cbranch_execz .LBB2_253
; %bb.252:                              ;   in Loop: Header=BB2_201 Depth=2
	s_bcnt1_i32_b32 s41, s41
	s_delay_alu instid0(SALU_CYCLE_1)
	v_mov_b32_e32 v2, s41
	s_wait_storecnt 0x0
	s_wait_loadcnt_dscnt 0x0
	ds_add_u64 v2, v[2:3]
	s_trap 2
.LBB2_253:                              ;   in Loop: Header=BB2_201 Depth=2
	s_or_b32 exec_lo, exec_lo, s20
	s_trap 2
	ds_load_b64 v[112:113], v2
	s_wait_dscnt 0x0
	v_add_nc_u64_e32 v[12:13], v[12:13], v[32:33]
	s_mov_b32 s20, exec_lo
	s_delay_alu instid0(VALU_DEP_1)
	v_cmpx_lt_u64_e64 v[112:113], v[12:13]
	s_cbranch_execz .LBB2_262
; %bb.254:                              ;   in Loop: Header=BB2_201 Depth=2
	s_mov_b32 s41, 0
	s_mov_b32 s46, 0
                                        ; implicit-def: $sgpr44
                                        ; implicit-def: $sgpr45
	s_branch .LBB2_256
.LBB2_255:                              ;   in Loop: Header=BB2_256 Depth=3
	s_or_b32 exec_lo, exec_lo, s74
	s_delay_alu instid0(SALU_CYCLE_1) | instskip(NEXT) | instid1(SALU_CYCLE_1)
	s_and_b32 s47, exec_lo, s75
	s_or_b32 s41, s47, s41
	s_and_not1_b32 s44, s44, exec_lo
	s_and_b32 s47, s45, exec_lo
	s_delay_alu instid0(SALU_CYCLE_1)
	s_or_b32 s44, s44, s47
	s_and_not1_b32 exec_lo, exec_lo, s41
	s_cbranch_execz .LBB2_260
.LBB2_256:                              ;   Parent Loop BB2_47 Depth=1
                                        ;     Parent Loop BB2_201 Depth=2
                                        ; =>    This Inner Loop Header: Depth=3
	s_add_co_i32 s46, s46, 1
	s_delay_alu instid0(SALU_CYCLE_1) | instskip(SKIP_1) | instid1(SALU_CYCLE_1)
	s_cmp_lg_u32 s46, 0x2710
	s_cselect_b32 s47, -1, 0
	s_and_b32 vcc_lo, exec_lo, s47
	s_cbranch_vccz .LBB2_258
; %bb.257:                              ;   in Loop: Header=BB2_256 Depth=3
	s_mov_b32 s75, -1
	s_or_b32 s45, s45, exec_lo
	s_and_saveexec_b32 s74, s47
	s_cbranch_execz .LBB2_255
	s_branch .LBB2_259
.LBB2_258:                              ;   in Loop: Header=BB2_256 Depth=3
	s_trap 2
	ds_load_b64 v[112:113], v2
	s_and_not1_b32 s47, s47, exec_lo
	s_mov_b32 s46, 0
	s_wait_storecnt 0x0
	s_wait_loadcnt_dscnt 0x0
	flat_load_b32 v2, v[112:113] scope:SCOPE_SYS
	s_wait_loadcnt_dscnt 0x0
	global_inv scope:SCOPE_SYS
	v_cmp_eq_u32_e32 vcc_lo, 0, v2
	s_and_b32 s74, vcc_lo, exec_lo
	s_delay_alu instid0(SALU_CYCLE_1)
	s_or_b32 s47, s47, s74
	s_mov_b32 s75, -1
	s_or_b32 s45, s45, exec_lo
	s_and_saveexec_b32 s74, s47
	s_cbranch_execz .LBB2_255
.LBB2_259:                              ;   in Loop: Header=BB2_256 Depth=3
	s_sleep 1
	s_trap 2
	ds_load_b64 v[112:113], v2
	s_wait_dscnt 0x0
	s_and_not1_b32 s45, s45, exec_lo
	v_cmp_ge_u64_e32 vcc_lo, v[112:113], v[12:13]
	s_or_not1_b32 s75, vcc_lo, exec_lo
	s_branch .LBB2_255
.LBB2_260:                              ;   in Loop: Header=BB2_201 Depth=2
	s_or_b32 exec_lo, exec_lo, s41
	s_and_saveexec_b32 s41, s44
	s_delay_alu instid0(SALU_CYCLE_1)
	s_xor_b32 s41, exec_lo, s41
	s_cbranch_execz .LBB2_262
; %bb.261:                              ;   in Loop: Header=BB2_201 Depth=2
	ds_store_b32 v2, v75
	s_trap 2
.LBB2_262:                              ;   in Loop: Header=BB2_201 Depth=2
	s_or_b32 exec_lo, exec_lo, s20
	;;#ASMSTART
	s_wakeup
	;;#ASMEND
.LBB2_263:                              ;   in Loop: Header=BB2_201 Depth=2
	s_or_b32 exec_lo, exec_lo, s17
.LBB2_264:                              ;   in Loop: Header=BB2_201 Depth=2
	s_and_not1_saveexec_b32 s16, s16
	s_cbranch_execz .LBB2_266
; %bb.265:                              ;   in Loop: Header=BB2_201 Depth=2
	;;#ASMSTART
	s_waitcnt lgkmcnt(0) vmcnt(0)
	;;#ASMEND
	s_barrier_signal -1
	s_barrier_wait -1
.LBB2_266:                              ;   in Loop: Header=BB2_201 Depth=2
	s_or_b32 exec_lo, exec_lo, s16
	v_and_b32_e32 v2, 16, v30
.LBB2_267:                              ;   in Loop: Header=BB2_201 Depth=2
	s_or_b32 exec_lo, exec_lo, s13
	s_delay_alu instid0(SALU_CYCLE_1) | instskip(NEXT) | instid1(VALU_DEP_1)
	s_mov_b32 s13, exec_lo
	v_cmpx_ne_u32_e32 0, v2
	s_cbranch_execz .LBB2_200
; %bb.268:                              ;   in Loop: Header=BB2_201 Depth=2
	s_and_saveexec_b32 s16, s5
	s_cbranch_execz .LBB2_199
; %bb.269:                              ;   in Loop: Header=BB2_201 Depth=2
	global_wb scope:SCOPE_SYS
	s_wait_storecnt 0x0
	s_wait_loadcnt_dscnt 0x0
	flat_store_b32 v[26:27], v75 scope:SCOPE_SYS
	s_branch .LBB2_199
.LBB2_270:                              ;   in Loop: Header=BB2_47 Depth=1
	s_or_b32 exec_lo, exec_lo, s15
.LBB2_271:                              ;   in Loop: Header=BB2_47 Depth=1
	s_delay_alu instid0(SALU_CYCLE_1) | instskip(NEXT) | instid1(SALU_CYCLE_1)
	s_or_b32 exec_lo, exec_lo, s14
	s_and_not1_b32 vcc_lo, exec_lo, s60
	s_cbranch_vccnz .LBB2_496
; %bb.272:                              ;   in Loop: Header=BB2_47 Depth=1
	s_mov_b32 s14, 2
	s_branch .LBB2_275
.LBB2_273:                              ;   in Loop: Header=BB2_275 Depth=2
	s_or_b32 exec_lo, exec_lo, s16
.LBB2_274:                              ;   in Loop: Header=BB2_275 Depth=2
	s_delay_alu instid0(SALU_CYCLE_1) | instskip(SKIP_1) | instid1(SALU_CYCLE_1)
	s_or_b32 exec_lo, exec_lo, s15
	s_add_co_i32 s14, s14, 1
	s_cmp_eq_u32 s14, s18
	s_cbranch_scc1 .LBB2_496
.LBB2_275:                              ;   Parent Loop BB2_47 Depth=1
                                        ; =>  This Loop Header: Depth=2
                                        ;       Child Loop BB2_278 Depth 3
                                        ;         Child Loop BB2_286 Depth 4
                                        ;         Child Loop BB2_314 Depth 4
	;; [unrolled: 1-line block ×9, first 2 shown]
                                        ;       Child Loop BB2_424 Depth 3
                                        ;         Child Loop BB2_430 Depth 4
                                        ;         Child Loop BB2_458 Depth 4
	;; [unrolled: 1-line block ×3, first 2 shown]
	s_sub_co_i32 s13, s58, s14
	v_mov_b32_e32 v10, 0
	s_cmp_ge_i32 s13, s18
	s_cselect_b32 s15, s18, 0
	s_delay_alu instid0(SALU_CYCLE_1) | instskip(NEXT) | instid1(SALU_CYCLE_1)
	s_sub_co_i32 s16, s13, s15
	s_ashr_i32 s17, s16, 31
	s_delay_alu instid0(SALU_CYCLE_1) | instskip(SKIP_1) | instid1(VALU_DEP_1)
	v_mul_u64_e32 v[112:113], s[16:17], v[96:97]
	s_mov_b32 s16, 0
	v_sub_nc_u64_e32 v[8:9], v[100:101], v[112:113]
	s_delay_alu instid0(VALU_DEP_1) | instskip(NEXT) | instid1(VALU_DEP_1)
	v_min_i64 v[8:9], v[96:97], v[8:9]
	v_max_i32_e32 v44, 0, v8
	v_cmp_lt_i32_e32 vcc_lo, 0, v8
	s_delay_alu instid0(VALU_DEP_2) | instskip(SKIP_1) | instid1(VALU_DEP_1)
	v_add_nc_u32_e32 v2, 31, v44
	s_and_b32 s13, s63, vcc_lo
	v_lshrrev_b32_e32 v2, 1, v2
	s_delay_alu instid0(VALU_DEP_1) | instskip(NEXT) | instid1(VALU_DEP_1)
	v_and_b32_e32 v9, 0x3ffffff0, v2
	v_dual_mov_b32 v2, 0 :: v_dual_max_i32 v8, s59, v9
	s_and_saveexec_b32 s15, s13
	s_cbranch_execz .LBB2_421
; %bb.276:                              ;   in Loop: Header=BB2_275 Depth=2
	v_mov_b32_e32 v10, 0
	s_mov_b32 s20, 1
	s_mov_b32 s17, -1
	s_branch .LBB2_278
.LBB2_277:                              ;   in Loop: Header=BB2_278 Depth=3
	s_wait_xcnt 0x0
	s_or_b32 exec_lo, exec_lo, s13
	v_dual_add_nc_u32 v10, v8, v10 :: v_dual_mov_b32 v2, s20
	s_xor_b32 s13, s17, -1
	s_mov_b32 s17, 0
	s_mov_b32 s20, 2
	s_delay_alu instid0(VALU_DEP_1) | instskip(SKIP_1) | instid1(SALU_CYCLE_1)
	v_cmp_ge_i32_e32 vcc_lo, v10, v44
	s_or_b32 s13, s13, vcc_lo
	s_and_b32 s13, exec_lo, s13
	s_delay_alu instid0(SALU_CYCLE_1) | instskip(NEXT) | instid1(SALU_CYCLE_1)
	s_or_b32 s16, s13, s16
	s_and_not1_b32 exec_lo, exec_lo, s16
	s_cbranch_execz .LBB2_420
.LBB2_278:                              ;   Parent Loop BB2_47 Depth=1
                                        ;     Parent Loop BB2_275 Depth=2
                                        ; =>    This Loop Header: Depth=3
                                        ;         Child Loop BB2_286 Depth 4
                                        ;         Child Loop BB2_314 Depth 4
                                        ;         Child Loop BB2_333 Depth 4
                                        ;         Child Loop BB2_359 Depth 4
                                        ;         Child Loop BB2_364 Depth 4
                                        ;         Child Loop BB2_372 Depth 4
                                        ;         Child Loop BB2_377 Depth 4
                                        ;         Child Loop BB2_386 Depth 4
                                        ;         Child Loop BB2_405 Depth 4
	s_and_saveexec_b32 s13, s0
	s_cbranch_execz .LBB2_280
; %bb.279:                              ;   in Loop: Header=BB2_278 Depth=3
	s_trap 2
	ds_load_b64 v[114:115], v2
	v_ashrrev_i32_e32 v11, 31, v10
	s_wait_dscnt 0x0
	v_lshl_add_u64 v[114:115], v[102:103], 3, v[114:115]
	s_delay_alu instid0(VALU_DEP_1) | instskip(NEXT) | instid1(VALU_DEP_1)
	v_lshl_add_u64 v[114:115], v[112:113], 3, v[114:115]
	v_lshl_add_u64 v[114:115], v[10:11], 3, v[114:115]
	ds_store_b64 v2, v[114:115]
	ds_store_b64 v2, v[34:35]
.LBB2_280:                              ;   in Loop: Header=BB2_278 Depth=3
	s_or_b32 exec_lo, exec_lo, s13
	v_sub_nc_u32_e32 v2, v44, v10
	v_and_b32_e32 v9, 12, v30
	s_mov_b32 s41, exec_lo
	s_delay_alu instid0(VALU_DEP_2) | instskip(NEXT) | instid1(VALU_DEP_2)
	v_min_i32_e32 v8, v8, v2
	v_cmpx_ne_u32_e32 0, v9
	s_cbranch_execz .LBB2_306
; %bb.281:                              ;   in Loop: Header=BB2_278 Depth=3
	v_and_b32_e32 v2, 8, v30
	v_add_nc_u64_e32 v[114:115], 2, v[98:99]
	s_mov_b32 s44, exec_lo
	s_wait_loadcnt_dscnt 0x1
	s_delay_alu instid0(VALU_DEP_2) | instskip(NEXT) | instid1(VALU_DEP_1)
	v_add_nc_u64_e32 v[116:117], v[28:29], v[2:3]
	v_cmpx_lt_u64_e64 v[116:117], v[114:115]
	s_cbranch_execz .LBB2_293
; %bb.282:                              ;   in Loop: Header=BB2_278 Depth=3
	v_and_b32_e32 v9, 64, v30
	s_mov_b32 s45, 0
	s_mov_b32 s75, 0
                                        ; implicit-def: $sgpr46
                                        ; implicit-def: $sgpr47
                                        ; implicit-def: $sgpr74
	s_delay_alu instid0(VALU_DEP_1)
	v_cmp_eq_u32_e32 vcc_lo, 0, v9
	s_branch .LBB2_286
.LBB2_283:                              ;   in Loop: Header=BB2_286 Depth=4
	s_wait_loadcnt_dscnt 0x0
	v_add_nc_u64_e32 v[116:117], v[28:29], v[2:3]
	s_or_b32 s78, s78, exec_lo
	s_delay_alu instid0(VALU_DEP_1)
	v_cmp_ge_u64_e64 s13, v[116:117], v[114:115]
	s_or_not1_b32 s77, s13, exec_lo
.LBB2_284:                              ;   in Loop: Header=BB2_286 Depth=4
	s_or_b32 exec_lo, exec_lo, s88
	s_delay_alu instid0(SALU_CYCLE_1)
	s_and_not1_b32 s13, s74, exec_lo
	s_and_b32 s74, s78, exec_lo
	s_and_not1_b32 s47, s47, exec_lo
	s_and_b32 s77, s77, exec_lo
	s_or_b32 s74, s13, s74
	s_or_b32 s47, s47, s77
.LBB2_285:                              ;   in Loop: Header=BB2_286 Depth=4
	s_or_b32 exec_lo, exec_lo, s76
	s_delay_alu instid0(SALU_CYCLE_1) | instskip(NEXT) | instid1(SALU_CYCLE_1)
	s_and_b32 s13, exec_lo, s47
	s_or_b32 s45, s13, s45
	s_and_not1_b32 s13, s46, exec_lo
	s_and_b32 s46, s74, exec_lo
	s_delay_alu instid0(SALU_CYCLE_1)
	s_or_b32 s46, s13, s46
	s_and_not1_b32 exec_lo, exec_lo, s45
	s_cbranch_execz .LBB2_290
.LBB2_286:                              ;   Parent Loop BB2_47 Depth=1
                                        ;     Parent Loop BB2_275 Depth=2
                                        ;       Parent Loop BB2_278 Depth=3
                                        ; =>      This Inner Loop Header: Depth=4
	s_sleep 1
	s_wait_loadcnt_dscnt 0x0
	flat_load_b64 v[28:29], v[20:21] scope:SCOPE_SYS
	s_or_b32 s74, s74, exec_lo
	s_or_b32 s47, s47, exec_lo
                                        ; implicit-def: $vgpr9
	s_wait_xcnt 0x0
	s_and_saveexec_b32 s76, vcc_lo
	s_cbranch_execz .LBB2_285
; %bb.287:                              ;   in Loop: Header=BB2_286 Depth=4
	s_cmp_lt_i32 s75, 0x270f
	s_mov_b32 s77, -1
	s_cselect_b32 s79, -1, 0
	s_cmp_gt_i32 s75, 0x270e
	s_cbranch_scc0 .LBB2_289
; %bb.288:                              ;   in Loop: Header=BB2_286 Depth=4
	s_trap 2
	ds_load_b64 v[116:117], v11
	s_and_not1_b32 s75, s79, exec_lo
	s_mov_b32 s78, 0
	s_wait_storecnt 0x0
	s_wait_loadcnt_dscnt 0x0
	flat_load_b32 v9, v[116:117] scope:SCOPE_SYS
	s_wait_loadcnt_dscnt 0x0
	global_inv scope:SCOPE_SYS
	v_cmp_eq_u32_e64 s13, 0, v9
	s_and_b32 s13, s13, exec_lo
	s_delay_alu instid0(SALU_CYCLE_1)
	s_or_b32 s79, s75, s13
	s_mov_b32 s75, 0
	s_and_saveexec_b32 s88, s79
	s_cbranch_execz .LBB2_284
	s_branch .LBB2_283
.LBB2_289:                              ;   in Loop: Header=BB2_286 Depth=4
	s_add_co_i32 s75, s75, 1
	s_mov_b32 s78, -1
                                        ; implicit-def: $vgpr9
	s_and_saveexec_b32 s88, s79
	s_cbranch_execz .LBB2_284
	s_branch .LBB2_283
.LBB2_290:                              ;   in Loop: Header=BB2_278 Depth=3
	s_or_b32 exec_lo, exec_lo, s45
	s_xor_b32 s13, s46, -1
	s_delay_alu instid0(SALU_CYCLE_1) | instskip(NEXT) | instid1(SALU_CYCLE_1)
	s_and_saveexec_b32 s45, s13
	s_xor_b32 s13, exec_lo, s45
	s_cbranch_execz .LBB2_292
; %bb.291:                              ;   in Loop: Header=BB2_278 Depth=3
	v_or_b32_e32 v30, 64, v30
	s_wait_storecnt 0x0
	s_wait_loadcnt_dscnt 0x0
	ds_store_b32 v11, v9
	s_trap 2
.LBB2_292:                              ;   in Loop: Header=BB2_278 Depth=3
	s_or_b32 exec_lo, exec_lo, s13
.LBB2_293:                              ;   in Loop: Header=BB2_278 Depth=3
	s_delay_alu instid0(SALU_CYCLE_1) | instskip(SKIP_3) | instid1(VALU_DEP_1)
	s_or_b32 exec_lo, exec_lo, s44
	v_and_b32_e32 v9, 0x108, v30
	s_mov_b32 s13, exec_lo
	;;#ASMSTART
	s_wakeup
	;;#ASMEND
                                        ; implicit-def: $vgpr116_vgpr117
	v_cmpx_ne_u32_e32 0x108, v9
	s_xor_b32 s13, exec_lo, s13
; %bb.294:                              ;   in Loop: Header=BB2_278 Depth=3
	v_dual_mov_b32 v117, v3 :: v_dual_bitop2_b32 v116, 7, v98 bitop3:0x40
                                        ; implicit-def: $vgpr98_vgpr99
; %bb.295:                              ;   in Loop: Header=BB2_278 Depth=3
	s_and_not1_saveexec_b32 s13, s13
	s_cbranch_execz .LBB2_297
; %bb.296:                              ;   in Loop: Header=BB2_278 Depth=3
	v_dual_ashrrev_i32 v9, 31, v8 :: v_dual_bitop2_b32 v116, 7, v98 bitop3:0x40
	v_mov_b32_e32 v117, v3
	s_delay_alu instid0(VALU_DEP_2) | instskip(NEXT) | instid1(VALU_DEP_3)
	v_mad_nc_u64_u32 v[98:99], v116, 24, v[6:7]
	v_lshlrev_b64_e32 v[118:119], 3, v[8:9]
	flat_store_b64 v[98:99], v[118:119] offset:8
.LBB2_297:                              ;   in Loop: Header=BB2_278 Depth=3
	s_wait_xcnt 0x0
	s_or_b32 exec_lo, exec_lo, s13
	v_and_b32_e32 v9, 0x100, v30
	s_mov_b32 s13, -1
	s_mov_b32 s44, exec_lo
                                        ; implicit-def: $vgpr98_vgpr99
	s_delay_alu instid0(VALU_DEP_1)
	v_cmpx_ne_u32_e32 0, v9
	s_cbranch_execz .LBB2_301
; %bb.298:                              ;   in Loop: Header=BB2_278 Depth=3
	v_mad_nc_u64_u32 v[118:119], v116, 24, v[6:7]
	s_mov_b32 s45, exec_lo
                                        ; implicit-def: $vgpr98_vgpr99
	s_delay_alu instid0(VALU_DEP_1)
	v_mad_u32 v119, v117, 24, v119
	flat_load_b32 v9, v[118:119]
	s_wait_loadcnt_dscnt 0x0
	v_cmp_ne_u32_e32 vcc_lo, 1, v9
	s_wait_xcnt 0x0
	v_cmpx_eq_u32_e32 1, v9
	s_cbranch_execz .LBB2_300
; %bb.299:                              ;   in Loop: Header=BB2_278 Depth=3
	flat_load_b32 v98, v[118:119] offset:4 scope:SCOPE_SYS
	s_wait_loadcnt_dscnt 0x0
	v_ashrrev_i32_e32 v99, 31, v98
	s_delay_alu instid0(VALU_DEP_1)
	v_lshrrev_b64 v[98:99], 3, v[98:99]
.LBB2_300:                              ;   in Loop: Header=BB2_278 Depth=3
	s_wait_xcnt 0x0
	s_or_b32 exec_lo, exec_lo, s45
	s_delay_alu instid0(SALU_CYCLE_1)
	s_or_not1_b32 s13, vcc_lo, exec_lo
.LBB2_301:                              ;   in Loop: Header=BB2_278 Depth=3
	s_or_b32 exec_lo, exec_lo, s44
	s_and_saveexec_b32 s44, s13
; %bb.302:                              ;   in Loop: Header=BB2_278 Depth=3
	v_mul_u64_e32 v[98:99], v[116:117], v[22:23]
; %bb.303:                              ;   in Loop: Header=BB2_278 Depth=3
	s_or_b32 exec_lo, exec_lo, s44
	v_cmp_eq_u32_e32 vcc_lo, 0, v2
	v_and_b32_e32 v9, 0x2000, v30
	s_delay_alu instid0(VALU_DEP_3) | instskip(SKIP_2) | instid1(VALU_DEP_1)
	v_lshl_add_u64 v[98:99], v[98:99], 3, v[24:25]
	s_mov_b32 s13, exec_lo
	v_cndmask_b32_e32 v2, 0xc8, v76, vcc_lo
	v_add_nc_u32_e32 v2, v0, v2
	ds_store_b64 v2, v[98:99] offset:584
	v_cmpx_ne_u32_e32 0, v9
	s_cbranch_execz .LBB2_305
; %bb.304:                              ;   in Loop: Header=BB2_278 Depth=3
	ds_load_b64 v[98:99], v0 offset:872
	s_wait_dscnt 0x0
	v_add_nc_u64_e32 v[98:99], 1, v[98:99]
	ds_store_b64 v0, v[98:99] offset:872
.LBB2_305:                              ;   in Loop: Header=BB2_278 Depth=3
	s_or_b32 exec_lo, exec_lo, s13
	v_mov_b64_e32 v[98:99], v[114:115]
.LBB2_306:                              ;   in Loop: Header=BB2_278 Depth=3
	s_or_b32 exec_lo, exec_lo, s41
	s_and_saveexec_b32 s13, s2
	s_cbranch_execz .LBB2_325
; %bb.307:                              ;   in Loop: Header=BB2_278 Depth=3
	s_and_saveexec_b32 s41, s3
	s_delay_alu instid0(SALU_CYCLE_1)
	s_xor_b32 s41, exec_lo, s41
	s_cbranch_execz .LBB2_322
; %bb.308:                              ;   in Loop: Header=BB2_278 Depth=3
	s_and_saveexec_b32 s44, s6
	s_cbranch_execz .LBB2_321
; %bb.309:                              ;   in Loop: Header=BB2_278 Depth=3
	s_mov_b32 s46, exec_lo
	s_mov_b32 s45, exec_lo
	v_mbcnt_lo_u32_b32 v2, s46, 0
	global_wb scope:SCOPE_DEV
	s_wait_storecnt 0x0
	s_wait_loadcnt_dscnt 0x0
	global_inv scope:SCOPE_DEV
	v_cmpx_eq_u32_e32 0, v2
	s_cbranch_execz .LBB2_311
; %bb.310:                              ;   in Loop: Header=BB2_278 Depth=3
	s_bcnt1_i32_b32 s46, s46
	s_delay_alu instid0(SALU_CYCLE_1)
	v_mov_b32_e32 v2, s46
	s_wait_loadcnt 0x0
	ds_add_u64 v2, v[2:3]
	s_trap 2
.LBB2_311:                              ;   in Loop: Header=BB2_278 Depth=3
	s_or_b32 exec_lo, exec_lo, s45
	s_trap 2
	ds_load_b64 v[114:115], v2
	s_wait_dscnt 0x0
	v_add_nc_u64_e32 v[12:13], v[12:13], v[32:33]
	s_mov_b32 s45, exec_lo
	s_delay_alu instid0(VALU_DEP_1)
	v_cmpx_lt_u64_e64 v[114:115], v[12:13]
	s_cbranch_execz .LBB2_320
; %bb.312:                              ;   in Loop: Header=BB2_278 Depth=3
	s_mov_b32 s46, 0
	s_mov_b32 s75, 0
                                        ; implicit-def: $sgpr47
                                        ; implicit-def: $sgpr74
	s_branch .LBB2_314
.LBB2_313:                              ;   in Loop: Header=BB2_314 Depth=4
	s_or_b32 exec_lo, exec_lo, s77
	s_delay_alu instid0(SALU_CYCLE_1) | instskip(NEXT) | instid1(SALU_CYCLE_1)
	s_and_b32 s76, exec_lo, s78
	s_or_b32 s46, s76, s46
	s_and_not1_b32 s47, s47, exec_lo
	s_and_b32 s76, s74, exec_lo
	s_delay_alu instid0(SALU_CYCLE_1)
	s_or_b32 s47, s47, s76
	s_and_not1_b32 exec_lo, exec_lo, s46
	s_cbranch_execz .LBB2_318
.LBB2_314:                              ;   Parent Loop BB2_47 Depth=1
                                        ;     Parent Loop BB2_275 Depth=2
                                        ;       Parent Loop BB2_278 Depth=3
                                        ; =>      This Inner Loop Header: Depth=4
	s_add_co_i32 s75, s75, 1
	s_delay_alu instid0(SALU_CYCLE_1) | instskip(SKIP_1) | instid1(SALU_CYCLE_1)
	s_cmp_lg_u32 s75, 0x2710
	s_cselect_b32 s76, -1, 0
	s_and_b32 vcc_lo, exec_lo, s76
	s_cbranch_vccz .LBB2_316
; %bb.315:                              ;   in Loop: Header=BB2_314 Depth=4
	s_mov_b32 s78, -1
	s_or_b32 s74, s74, exec_lo
	s_and_saveexec_b32 s77, s76
	s_cbranch_execz .LBB2_313
	s_branch .LBB2_317
.LBB2_316:                              ;   in Loop: Header=BB2_314 Depth=4
	s_trap 2
	ds_load_b64 v[114:115], v2
	s_and_not1_b32 s76, s76, exec_lo
	s_mov_b32 s75, 0
	s_wait_loadcnt_dscnt 0x0
	flat_load_b32 v2, v[114:115] scope:SCOPE_SYS
	s_wait_loadcnt_dscnt 0x0
	global_inv scope:SCOPE_SYS
	v_cmp_eq_u32_e32 vcc_lo, 0, v2
	s_and_b32 s77, vcc_lo, exec_lo
	s_delay_alu instid0(SALU_CYCLE_1)
	s_or_b32 s76, s76, s77
	s_mov_b32 s78, -1
	s_or_b32 s74, s74, exec_lo
	s_and_saveexec_b32 s77, s76
	s_cbranch_execz .LBB2_313
.LBB2_317:                              ;   in Loop: Header=BB2_314 Depth=4
	s_sleep 1
	s_trap 2
	ds_load_b64 v[114:115], v2
	s_wait_dscnt 0x0
	s_and_not1_b32 s74, s74, exec_lo
	v_cmp_ge_u64_e32 vcc_lo, v[114:115], v[12:13]
	s_or_not1_b32 s78, vcc_lo, exec_lo
	s_branch .LBB2_313
.LBB2_318:                              ;   in Loop: Header=BB2_278 Depth=3
	s_or_b32 exec_lo, exec_lo, s46
	s_and_saveexec_b32 s46, s47
	s_delay_alu instid0(SALU_CYCLE_1)
	s_xor_b32 s46, exec_lo, s46
	s_cbranch_execz .LBB2_320
; %bb.319:                              ;   in Loop: Header=BB2_278 Depth=3
	ds_store_b32 v2, v75
	s_trap 2
.LBB2_320:                              ;   in Loop: Header=BB2_278 Depth=3
	s_or_b32 exec_lo, exec_lo, s45
	;;#ASMSTART
	s_wakeup
	;;#ASMEND
.LBB2_321:                              ;   in Loop: Header=BB2_278 Depth=3
	s_or_b32 exec_lo, exec_lo, s44
.LBB2_322:                              ;   in Loop: Header=BB2_278 Depth=3
	s_and_not1_saveexec_b32 s41, s41
	s_cbranch_execz .LBB2_324
; %bb.323:                              ;   in Loop: Header=BB2_278 Depth=3
	global_wb scope:SCOPE_DEV
	s_wait_storecnt 0x0
	s_wait_loadcnt_dscnt 0x0
	global_inv scope:SCOPE_DEV
	s_barrier_signal -1
	s_barrier_wait -1
.LBB2_324:                              ;   in Loop: Header=BB2_278 Depth=3
	s_or_b32 exec_lo, exec_lo, s41
.LBB2_325:                              ;   in Loop: Header=BB2_278 Depth=3
	s_delay_alu instid0(SALU_CYCLE_1) | instskip(SKIP_4) | instid1(VALU_DEP_1)
	s_or_b32 exec_lo, exec_lo, s13
	s_trap 2
	ds_load_b32 v9, v2
	v_and_b32_e32 v2, 0x4000, v30
	s_xor_b32 s13, s1, -1
	v_cmp_ne_u32_e32 vcc_lo, 0, v2
	s_and_b32 s41, s13, vcc_lo
	s_delay_alu instid0(SALU_CYCLE_1)
	s_and_saveexec_b32 s13, s41
	s_cbranch_execz .LBB2_344
; %bb.326:                              ;   in Loop: Header=BB2_278 Depth=3
	s_and_saveexec_b32 s41, s3
	s_delay_alu instid0(SALU_CYCLE_1)
	s_xor_b32 s41, exec_lo, s41
	s_cbranch_execz .LBB2_341
; %bb.327:                              ;   in Loop: Header=BB2_278 Depth=3
	s_and_saveexec_b32 s44, s6
	s_cbranch_execz .LBB2_340
; %bb.328:                              ;   in Loop: Header=BB2_278 Depth=3
	s_mov_b32 s46, exec_lo
	s_mov_b32 s45, exec_lo
	v_mbcnt_lo_u32_b32 v2, s46, 0
	global_wb scope:SCOPE_DEV
	s_wait_storecnt 0x0
	s_wait_loadcnt_dscnt 0x0
	global_inv scope:SCOPE_DEV
	v_cmpx_eq_u32_e32 0, v2
	s_cbranch_execz .LBB2_330
; %bb.329:                              ;   in Loop: Header=BB2_278 Depth=3
	s_bcnt1_i32_b32 s46, s46
	s_delay_alu instid0(SALU_CYCLE_1)
	v_mov_b32_e32 v2, s46
	s_wait_loadcnt 0x0
	ds_add_u64 v2, v[2:3]
	s_trap 2
.LBB2_330:                              ;   in Loop: Header=BB2_278 Depth=3
	s_or_b32 exec_lo, exec_lo, s45
	s_trap 2
	ds_load_b64 v[114:115], v2
	s_wait_dscnt 0x0
	v_add_nc_u64_e32 v[12:13], v[12:13], v[32:33]
	s_mov_b32 s45, exec_lo
	s_delay_alu instid0(VALU_DEP_1)
	v_cmpx_lt_u64_e64 v[114:115], v[12:13]
	s_cbranch_execz .LBB2_339
; %bb.331:                              ;   in Loop: Header=BB2_278 Depth=3
	s_mov_b32 s46, 0
	s_mov_b32 s75, 0
                                        ; implicit-def: $sgpr47
                                        ; implicit-def: $sgpr74
	s_branch .LBB2_333
.LBB2_332:                              ;   in Loop: Header=BB2_333 Depth=4
	s_or_b32 exec_lo, exec_lo, s77
	s_delay_alu instid0(SALU_CYCLE_1) | instskip(NEXT) | instid1(SALU_CYCLE_1)
	s_and_b32 s76, exec_lo, s78
	s_or_b32 s46, s76, s46
	s_and_not1_b32 s47, s47, exec_lo
	s_and_b32 s76, s74, exec_lo
	s_delay_alu instid0(SALU_CYCLE_1)
	s_or_b32 s47, s47, s76
	s_and_not1_b32 exec_lo, exec_lo, s46
	s_cbranch_execz .LBB2_337
.LBB2_333:                              ;   Parent Loop BB2_47 Depth=1
                                        ;     Parent Loop BB2_275 Depth=2
                                        ;       Parent Loop BB2_278 Depth=3
                                        ; =>      This Inner Loop Header: Depth=4
	s_add_co_i32 s75, s75, 1
	s_delay_alu instid0(SALU_CYCLE_1) | instskip(SKIP_1) | instid1(SALU_CYCLE_1)
	s_cmp_lg_u32 s75, 0x2710
	s_cselect_b32 s76, -1, 0
	s_and_b32 vcc_lo, exec_lo, s76
	s_cbranch_vccz .LBB2_335
; %bb.334:                              ;   in Loop: Header=BB2_333 Depth=4
	s_mov_b32 s78, -1
	s_or_b32 s74, s74, exec_lo
	s_and_saveexec_b32 s77, s76
	s_cbranch_execz .LBB2_332
	s_branch .LBB2_336
.LBB2_335:                              ;   in Loop: Header=BB2_333 Depth=4
	s_trap 2
	ds_load_b64 v[114:115], v2
	s_and_not1_b32 s76, s76, exec_lo
	s_mov_b32 s75, 0
	s_wait_loadcnt_dscnt 0x0
	flat_load_b32 v2, v[114:115] scope:SCOPE_SYS
	s_wait_loadcnt_dscnt 0x0
	global_inv scope:SCOPE_SYS
	v_cmp_eq_u32_e32 vcc_lo, 0, v2
	s_and_b32 s77, vcc_lo, exec_lo
	s_delay_alu instid0(SALU_CYCLE_1)
	s_or_b32 s76, s76, s77
	s_mov_b32 s78, -1
	s_or_b32 s74, s74, exec_lo
	s_and_saveexec_b32 s77, s76
	s_cbranch_execz .LBB2_332
.LBB2_336:                              ;   in Loop: Header=BB2_333 Depth=4
	s_sleep 1
	s_trap 2
	ds_load_b64 v[114:115], v2
	s_wait_dscnt 0x0
	s_and_not1_b32 s74, s74, exec_lo
	v_cmp_ge_u64_e32 vcc_lo, v[114:115], v[12:13]
	s_or_not1_b32 s78, vcc_lo, exec_lo
	s_branch .LBB2_332
.LBB2_337:                              ;   in Loop: Header=BB2_278 Depth=3
	s_or_b32 exec_lo, exec_lo, s46
	s_and_saveexec_b32 s46, s47
	s_delay_alu instid0(SALU_CYCLE_1)
	s_xor_b32 s46, exec_lo, s46
	s_cbranch_execz .LBB2_339
; %bb.338:                              ;   in Loop: Header=BB2_278 Depth=3
	ds_store_b32 v2, v75
	s_trap 2
.LBB2_339:                              ;   in Loop: Header=BB2_278 Depth=3
	s_or_b32 exec_lo, exec_lo, s45
	;;#ASMSTART
	s_wakeup
	;;#ASMEND
.LBB2_340:                              ;   in Loop: Header=BB2_278 Depth=3
	s_or_b32 exec_lo, exec_lo, s44
.LBB2_341:                              ;   in Loop: Header=BB2_278 Depth=3
	s_and_not1_saveexec_b32 s41, s41
	s_cbranch_execz .LBB2_343
; %bb.342:                              ;   in Loop: Header=BB2_278 Depth=3
	global_wb scope:SCOPE_DEV
	s_wait_storecnt 0x0
	s_wait_loadcnt_dscnt 0x0
	global_inv scope:SCOPE_DEV
	s_barrier_signal -1
	s_barrier_wait -1
.LBB2_343:                              ;   in Loop: Header=BB2_278 Depth=3
	s_or_b32 exec_lo, exec_lo, s41
.LBB2_344:                              ;   in Loop: Header=BB2_278 Depth=3
	s_delay_alu instid0(SALU_CYCLE_1)
	s_or_b32 exec_lo, exec_lo, s13
	s_trap 2
	ds_load_b64 v[114:115], v2
	s_wait_dscnt 0x0
	v_cmp_eq_u64_e32 vcc_lo, 0, v[114:115]
	s_cbranch_vccnz .LBB2_352
; %bb.345:                              ;   in Loop: Header=BB2_278 Depth=3
	s_trap 2
	ds_load_b64 v[116:117], v2
	s_wait_dscnt 0x0
	v_cmp_eq_u64_e32 vcc_lo, 0, v[116:117]
	s_cbranch_vccnz .LBB2_352
; %bb.346:                              ;   in Loop: Header=BB2_278 Depth=3
	s_mov_b32 s13, -1
	s_and_saveexec_b32 s41, s11
	s_cbranch_execz .LBB2_348
; %bb.347:                              ;   in Loop: Header=BB2_278 Depth=3
	ds_load_b32 v2, v0 offset:720
	s_wait_dscnt 0x0
	v_and_b32_e32 v2, 15, v2
	s_delay_alu instid0(VALU_DEP_1)
	v_cmp_eq_u32_e32 vcc_lo, 0, v2
	s_or_not1_b32 s13, vcc_lo, exec_lo
.LBB2_348:                              ;   in Loop: Header=BB2_278 Depth=3
	s_or_b32 exec_lo, exec_lo, s41
	s_and_saveexec_b32 s41, s10
	s_cbranch_execz .LBB2_350
; %bb.349:                              ;   in Loop: Header=BB2_278 Depth=3
	ds_load_b32 v2, v0 offset:784
	s_wait_dscnt 0x0
	v_and_b32_e32 v2, 15, v2
	s_delay_alu instid0(VALU_DEP_1) | instskip(SKIP_3) | instid1(SALU_CYCLE_1)
	v_cmp_eq_u32_e32 vcc_lo, 0, v2
	s_and_b32 s44, s13, vcc_lo
	s_and_not1_b32 s13, s13, exec_lo
	s_and_b32 s44, s44, exec_lo
	s_or_b32 s13, s13, s44
.LBB2_350:                              ;   in Loop: Header=BB2_278 Depth=3
	s_or_b32 exec_lo, exec_lo, s41
	v_cmp_eq_u32_e32 vcc_lo, 0, v9
	s_xor_b32 s13, s13, -1
	s_mov_b32 s44, -1
	v_cndmask_b32_e64 v11, 0, 1, s13
	v_cndmask_b32_e32 v2, 0, v8, vcc_lo
	s_delay_alu instid0(VALU_DEP_2) | instskip(NEXT) | instid1(VALU_DEP_2)
	v_cmp_ne_u32_e32 vcc_lo, 0, v11
	v_dual_mov_b32 v11, 0 :: v_dual_lshlrev_b32 v9, 3, v2
	s_cbranch_vccz .LBB2_357
; %bb.351:                              ;   in Loop: Header=BB2_278 Depth=3
	v_dual_mov_b32 v118, v0 :: v_dual_mov_b32 v45, v73
	s_and_saveexec_b32 s41, s44
	s_cbranch_execnz .LBB2_370
	s_branch .LBB2_378
.LBB2_352:                              ;   in Loop: Header=BB2_278 Depth=3
	s_mov_b32 s13, 0
	s_and_saveexec_b32 s41, s2
	s_cbranch_execnz .LBB2_379
.LBB2_353:                              ;   in Loop: Header=BB2_278 Depth=3
	s_or_b32 exec_lo, exec_lo, s41
                                        ; implicit-def: $vgpr2
	s_and_saveexec_b32 s41, s12
	s_delay_alu instid0(SALU_CYCLE_1)
	s_xor_b32 s41, exec_lo, s41
	s_cbranch_execz .LBB2_397
.LBB2_354:                              ;   in Loop: Header=BB2_278 Depth=3
	v_and_b32_e32 v2, 16, v30
	s_delay_alu instid0(VALU_DEP_1) | instskip(SKIP_2) | instid1(SALU_CYCLE_1)
	v_cmp_ne_u32_e32 vcc_lo, 0, v2
	v_and_b32_e32 v2, 16, v30
	s_and_b32 s44, vcc_lo, s13
	s_and_saveexec_b32 s13, s44
	s_cbranch_execz .LBB2_356
; %bb.355:                              ;   in Loop: Header=BB2_278 Depth=3
	v_mov_b32_e32 v2, 1
	global_wb scope:SCOPE_SYS
	s_wait_storecnt 0x0
	s_wait_loadcnt_dscnt 0x0
	global_inv scope:SCOPE_SYS
.LBB2_356:                              ;   in Loop: Header=BB2_278 Depth=3
	s_or_b32 exec_lo, exec_lo, s13
	s_and_not1_saveexec_b32 s13, s41
	s_cbranch_execz .LBB2_416
	s_branch .LBB2_398
.LBB2_357:                              ;   in Loop: Header=BB2_278 Depth=3
	s_delay_alu instid0(VALU_DEP_1) | instskip(SKIP_1) | instid1(VALU_DEP_1)
	v_ashrrev_i32_e32 v11, 31, v9
	s_mov_b32 s41, exec_lo
	v_lshrrev_b32_e32 v11, 23, v11
	s_delay_alu instid0(VALU_DEP_1) | instskip(NEXT) | instid1(VALU_DEP_1)
	v_add_nc_u32_e32 v11, v9, v11
	v_and_b32_e32 v46, 0xfffffe00, v11
	s_delay_alu instid0(VALU_DEP_1) | instskip(NEXT) | instid1(VALU_DEP_1)
	v_dual_ashrrev_i32 v11, 9, v11 :: v_dual_sub_nc_u32 v56, v9, v46
	v_dual_sub_nc_u32 v118, v11, v74 :: v_dual_sub_nc_u32 v11, v9, v36
	s_delay_alu instid0(VALU_DEP_2) | instskip(NEXT) | instid1(VALU_DEP_2)
	v_cmp_lt_i32_e32 vcc_lo, 15, v56
	v_add_co_ci_u32_e64 v57, null, 0, v118, vcc_lo
	s_delay_alu instid0(VALU_DEP_3)
	v_cmpx_lt_i32_e32 15, v11
	s_cbranch_execz .LBB2_361
; %bb.358:                              ;   in Loop: Header=BB2_278 Depth=3
	s_trap 2
	ds_load_b64 v[40:41], v45
	v_add_nc_u64_e32 v[118:119], v[114:115], v[36:37]
	v_add_nc_u64_e32 v[42:43], v[116:117], v[36:37]
	s_mov_b32 s44, 0
	s_wait_dscnt 0x0
	v_add_nc_u64_e32 v[40:41], v[40:41], v[36:37]
.LBB2_359:                              ;   Parent Loop BB2_47 Depth=1
                                        ;     Parent Loop BB2_275 Depth=2
                                        ;       Parent Loop BB2_278 Depth=3
                                        ; =>      This Inner Loop Header: Depth=4
	global_load_b128 v[58:61], v[118:119], off th:TH_LOAD_NT
	global_load_b128 v[88:91], v[40:41], off th:TH_LOAD_NT
	v_sub_nc_u32_e32 v11, v11, v52
	s_wait_xcnt 0x1
	v_add_nc_u64_e32 v[118:119], v[118:119], v[52:53]
	s_wait_xcnt 0x0
	v_add_nc_u64_e32 v[40:41], v[40:41], v[52:53]
	v_sub_nc_u32_e32 v57, v57, v32
	v_cmp_gt_i32_e64 s13, 16, v11
	s_or_b32 s44, s13, s44
	s_wait_loadcnt 0x0
	v_add_nc_u64_e32 v[58:59], v[88:89], v[58:59]
	v_add_nc_u64_e32 v[60:61], v[90:91], v[60:61]
	global_store_b128 v[42:43], v[58:61], off th:TH_STORE_NT
	s_wait_xcnt 0x0
	v_add_nc_u64_e32 v[42:43], v[42:43], v[52:53]
	s_and_not1_b32 exec_lo, exec_lo, s44
	s_cbranch_execnz .LBB2_359
; %bb.360:                              ;   in Loop: Header=BB2_278 Depth=3
	s_or_b32 exec_lo, exec_lo, s44
.LBB2_361:                              ;   in Loop: Header=BB2_278 Depth=3
	s_delay_alu instid0(SALU_CYCLE_1) | instskip(SKIP_3) | instid1(VALU_DEP_1)
	s_or_b32 exec_lo, exec_lo, s41
	v_dual_mov_b32 v11, 0 :: v_dual_bitop2_b32 v119, 8, v9 bitop3:0x40
	s_mov_b32 s44, 0
	s_mov_b32 s41, exec_lo
                                        ; implicit-def: $vgpr9
                                        ; implicit-def: $vgpr118
                                        ; implicit-def: $vgpr45
	v_cndmask_b32_e32 v47, v56, v119, vcc_lo
	s_delay_alu instid0(VALU_DEP_1)
	v_cmpx_ne_u32_e32 0, v47
	s_cbranch_execz .LBB2_369
; %bb.362:                              ;   in Loop: Header=BB2_278 Depth=3
	v_cmp_lt_i32_e64 s13, 0, v57
	s_mov_b32 s44, exec_lo
	v_ashrrev_i32_e32 v118, 31, v47
	v_dual_sub_nc_u32 v119, v56, v119 :: v_dual_cndmask_b32 v9, 0, v32, s13
	s_delay_alu instid0(VALU_DEP_1) | instskip(NEXT) | instid1(VALU_DEP_1)
	v_dual_lshrrev_b32 v118, 23, v118 :: v_dual_sub_nc_u32 v9, v9, v57
	v_add_nc_u32_e32 v118, v47, v118
	s_delay_alu instid0(VALU_DEP_2) | instskip(NEXT) | instid1(VALU_DEP_2)
	v_lshl_or_b32 v9, v9, 5, v73
	v_and_b32_e32 v57, 0xfffffe00, v118
	s_delay_alu instid0(VALU_DEP_2) | instskip(NEXT) | instid1(VALU_DEP_1)
	v_dual_ashrrev_i32 v118, 9, v118 :: v_dual_ashrrev_i32 v11, 31, v9
	v_dual_sub_nc_u32 v56, v47, v57 :: v_dual_lshrrev_b32 v11, 27, v11
	s_delay_alu instid0(VALU_DEP_1) | instskip(NEXT) | instid1(VALU_DEP_1)
	v_add_nc_u32_e32 v11, v9, v11
	v_and_b32_e32 v40, 0xffffffe0, v11
	s_delay_alu instid0(VALU_DEP_1) | instskip(SKIP_2) | instid1(VALU_DEP_3)
	v_dual_sub_nc_u32 v58, v9, v40 :: v_dual_ashrrev_i32 v40, 5, v11
	v_cndmask_b32_e32 v119, 0, v119, vcc_lo
	v_cmp_lt_i32_e32 vcc_lo, 15, v56
	v_lshlrev_b32_e32 v9, 4, v58
	v_add_co_ci_u32_e64 v118, null, 0, v118, vcc_lo
	s_delay_alu instid0(VALU_DEP_2) | instskip(NEXT) | instid1(VALU_DEP_2)
	v_lshl_add_u32 v11, v40, 9, v9
	v_dual_sub_nc_u32 v59, v118, v40 :: v_dual_add_nc_u32 v46, v119, v46
	s_delay_alu instid0(VALU_DEP_2) | instskip(NEXT) | instid1(VALU_DEP_1)
	v_sub_nc_u32_e32 v9, v47, v11
	v_cmpx_lt_i32_e32 15, v9
	s_cbranch_execz .LBB2_366
; %bb.363:                              ;   in Loop: Header=BB2_278 Depth=3
	s_trap 2
	ds_load_b64 v[40:41], v11
	v_add_nc_u32_e32 v42, v11, v46
	s_mov_b32 s45, 0
	s_delay_alu instid0(VALU_DEP_1) | instskip(NEXT) | instid1(VALU_DEP_1)
	v_ashrrev_i32_e32 v43, 31, v42
	v_add_nc_u64_e32 v[118:119], v[42:43], v[114:115]
	s_wait_dscnt 0x0
	v_add_nc_u64_e32 v[40:41], v[40:41], v[42:43]
	v_add_nc_u64_e32 v[42:43], v[42:43], v[116:117]
.LBB2_364:                              ;   Parent Loop BB2_47 Depth=1
                                        ;     Parent Loop BB2_275 Depth=2
                                        ;       Parent Loop BB2_278 Depth=3
                                        ; =>      This Inner Loop Header: Depth=4
	global_load_b128 v[60:63], v[118:119], off th:TH_LOAD_NT
	global_load_b128 v[88:91], v[40:41], off th:TH_LOAD_NT
	v_sub_nc_u32_e32 v9, v9, v52
	s_wait_xcnt 0x1
	v_add_nc_u64_e32 v[118:119], v[118:119], v[52:53]
	s_wait_xcnt 0x0
	v_add_nc_u64_e32 v[40:41], v[40:41], v[52:53]
	v_sub_nc_u32_e32 v59, v59, v32
	v_cmp_gt_i32_e64 s13, 16, v9
	s_or_b32 s45, s13, s45
	s_wait_loadcnt 0x0
	v_add_nc_u64_e32 v[60:61], v[88:89], v[60:61]
	v_add_nc_u64_e32 v[62:63], v[90:91], v[62:63]
	global_store_b128 v[42:43], v[60:63], off th:TH_STORE_NT
	s_wait_xcnt 0x0
	v_add_nc_u64_e32 v[42:43], v[42:43], v[52:53]
	s_and_not1_b32 exec_lo, exec_lo, s45
	s_cbranch_execnz .LBB2_364
; %bb.365:                              ;   in Loop: Header=BB2_278 Depth=3
	s_or_b32 exec_lo, exec_lo, s45
.LBB2_366:                              ;   in Loop: Header=BB2_278 Depth=3
	s_delay_alu instid0(SALU_CYCLE_1) | instskip(SKIP_3) | instid1(VALU_DEP_1)
	s_or_b32 exec_lo, exec_lo, s44
	v_dual_mov_b32 v11, 0 :: v_dual_bitop2_b32 v119, 8, v47 bitop3:0x40
	s_mov_b32 s44, 0
	s_mov_b32 s45, exec_lo
                                        ; implicit-def: $vgpr118
                                        ; implicit-def: $vgpr45
	v_cndmask_b32_e32 v9, v56, v119, vcc_lo
	s_delay_alu instid0(VALU_DEP_1)
	v_cmpx_ne_u32_e32 0, v9
	s_cbranch_execz .LBB2_368
; %bb.367:                              ;   in Loop: Header=BB2_278 Depth=3
	v_cmp_lt_i32_e64 s13, 0, v59
	s_mov_b32 s44, exec_lo
	v_dual_sub_nc_u32 v119, v56, v119 :: v_dual_cndmask_b32 v11, 0, v32, s13
	s_delay_alu instid0(VALU_DEP_1) | instskip(NEXT) | instid1(VALU_DEP_2)
	v_cndmask_b32_e32 v119, 0, v119, vcc_lo
	v_sub_nc_u32_e32 v11, v11, v59
	s_delay_alu instid0(VALU_DEP_1) | instskip(NEXT) | instid1(VALU_DEP_1)
	v_lshl_add_u32 v118, v11, 5, v58
	v_ashrrev_i32_e32 v11, 31, v118
	s_delay_alu instid0(VALU_DEP_1) | instskip(NEXT) | instid1(VALU_DEP_1)
	v_lshrrev_b32_e32 v11, 27, v11
	v_add_nc_u32_e32 v11, v118, v11
	s_delay_alu instid0(VALU_DEP_1) | instskip(SKIP_1) | instid1(VALU_DEP_2)
	v_and_b32_e32 v40, 0xffffffe0, v11
	v_add3_u32 v11, v57, v46, v119
	v_sub_nc_u32_e32 v45, v118, v40
.LBB2_368:                              ;   in Loop: Header=BB2_278 Depth=3
	s_or_b32 exec_lo, exec_lo, s45
	s_delay_alu instid0(SALU_CYCLE_1)
	s_and_b32 s44, s44, exec_lo
.LBB2_369:                              ;   in Loop: Header=BB2_278 Depth=3
	s_or_b32 exec_lo, exec_lo, s41
	s_and_saveexec_b32 s41, s44
	s_cbranch_execz .LBB2_378
.LBB2_370:                              ;   in Loop: Header=BB2_278 Depth=3
	s_delay_alu instid0(VALU_DEP_1) | instskip(SKIP_1) | instid1(VALU_DEP_1)
	v_dual_ashrrev_i32 v119, 31, v118 :: v_dual_ashrrev_i32 v40, 31, v9
	s_mov_b32 s44, exec_lo
	v_dual_lshrrev_b32 v119, 27, v119 :: v_dual_lshrrev_b32 v40, 24, v40
	s_delay_alu instid0(VALU_DEP_1) | instskip(NEXT) | instid1(VALU_DEP_1)
	v_dual_add_nc_u32 v118, v118, v119 :: v_dual_add_nc_u32 v119, v9, v40
	v_dual_ashrrev_i32 v40, 5, v118 :: v_dual_lshlrev_b32 v118, 3, v45
	s_delay_alu instid0(VALU_DEP_2) | instskip(SKIP_1) | instid1(VALU_DEP_3)
	v_and_b32_e32 v46, 0xffffff00, v119
	v_ashrrev_i32_e32 v119, 8, v119
	v_lshl_add_u32 v118, v40, 8, v118
	s_delay_alu instid0(VALU_DEP_2) | instskip(NEXT) | instid1(VALU_DEP_2)
	v_dual_sub_nc_u32 v47, v9, v46 :: v_dual_sub_nc_u32 v119, v119, v40
	v_sub_nc_u32_e32 v57, v9, v118
	s_delay_alu instid0(VALU_DEP_2) | instskip(NEXT) | instid1(VALU_DEP_3)
	v_cmp_lt_i32_e32 vcc_lo, 7, v47
	v_add_co_ci_u32_e64 v56, null, 0, v119, vcc_lo
	s_delay_alu instid0(VALU_DEP_3)
	v_cmpx_lt_i32_e32 7, v57
	s_cbranch_execz .LBB2_374
; %bb.371:                              ;   in Loop: Header=BB2_278 Depth=3
	s_trap 2
	ds_load_b64 v[40:41], v58
	v_add_nc_u32_e32 v42, v118, v11
	s_mov_b32 s45, 0
	s_delay_alu instid0(VALU_DEP_1) | instskip(NEXT) | instid1(VALU_DEP_1)
	v_ashrrev_i32_e32 v43, 31, v42
	v_add_nc_u64_e32 v[118:119], v[42:43], v[114:115]
	s_wait_dscnt 0x0
	v_add_nc_u64_e32 v[40:41], v[40:41], v[42:43]
	v_add_nc_u64_e32 v[42:43], v[42:43], v[116:117]
.LBB2_372:                              ;   Parent Loop BB2_47 Depth=1
                                        ;     Parent Loop BB2_275 Depth=2
                                        ;       Parent Loop BB2_278 Depth=3
                                        ; =>      This Inner Loop Header: Depth=4
	flat_load_b64 v[58:59], v[118:119] th:TH_LOAD_NT
	flat_load_b64 v[60:61], v[40:41] th:TH_LOAD_NT
	v_dual_sub_nc_u32 v57, v57, v54 :: v_dual_sub_nc_u32 v56, v56, v32
	s_wait_xcnt 0x1
	v_add_nc_u64_e32 v[118:119], v[118:119], v[54:55]
	s_wait_xcnt 0x0
	v_add_nc_u64_e32 v[40:41], v[40:41], v[54:55]
	v_cmp_gt_i32_e64 s13, 8, v57
	s_or_b32 s45, s13, s45
	s_wait_loadcnt_dscnt 0x0
	v_add_nc_u64_e32 v[58:59], v[60:61], v[58:59]
	flat_store_b64 v[42:43], v[58:59] th:TH_STORE_NT
	s_wait_xcnt 0x0
	v_add_nc_u64_e32 v[42:43], v[42:43], v[54:55]
	s_and_not1_b32 exec_lo, exec_lo, s45
	s_cbranch_execnz .LBB2_372
; %bb.373:                              ;   in Loop: Header=BB2_278 Depth=3
	s_or_b32 exec_lo, exec_lo, s45
.LBB2_374:                              ;   in Loop: Header=BB2_278 Depth=3
	s_delay_alu instid0(SALU_CYCLE_1) | instskip(SKIP_1) | instid1(VALU_DEP_1)
	s_or_b32 exec_lo, exec_lo, s44
	v_and_b32_e32 v118, 7, v9
	v_cndmask_b32_e32 v9, v47, v118, vcc_lo
	s_delay_alu instid0(VALU_DEP_1)
	v_cmp_ne_u32_e64 s13, 0, v9
	s_and_b32 exec_lo, exec_lo, s13
	s_cbranch_execz .LBB2_378
; %bb.375:                              ;   in Loop: Header=BB2_278 Depth=3
	v_cmp_lt_i32_e64 s13, 0, v56
	s_delay_alu instid0(VALU_DEP_1) | instskip(NEXT) | instid1(VALU_DEP_1)
	v_cndmask_b32_e64 v119, 0, v32, s13
	v_sub_nc_u32_e32 v119, v119, v56
	s_delay_alu instid0(VALU_DEP_1) | instskip(NEXT) | instid1(VALU_DEP_1)
	v_lshl_add_u32 v119, v119, 5, v45
	v_ashrrev_i32_e32 v40, 31, v119
	s_delay_alu instid0(VALU_DEP_1) | instskip(NEXT) | instid1(VALU_DEP_1)
	v_lshrrev_b32_e32 v40, 27, v40
	v_add_nc_u32_e32 v40, v119, v40
	s_delay_alu instid0(VALU_DEP_1) | instskip(NEXT) | instid1(VALU_DEP_1)
	v_and_b32_e32 v41, 0x1fffffe0, v40
	v_dual_lshlrev_b32 v40, 3, v40 :: v_dual_sub_nc_u32 v119, v119, v41
	s_delay_alu instid0(VALU_DEP_1) | instskip(NEXT) | instid1(VALU_DEP_1)
	v_and_b32_e32 v40, 0xffffff00, v40
	v_lshl_add_u32 v119, v119, 3, v40
	s_delay_alu instid0(VALU_DEP_1) | instskip(NEXT) | instid1(VALU_DEP_1)
	v_sub_nc_u32_e32 v9, v9, v119
	v_cmp_lt_i32_e64 s13, 7, v9
	s_and_b32 exec_lo, exec_lo, s13
	s_cbranch_execz .LBB2_378
; %bb.376:                              ;   in Loop: Header=BB2_278 Depth=3
	v_sub_nc_u32_e32 v118, v47, v118
	s_trap 2
	ds_load_b64 v[40:41], v11
	v_add_nc_u32_e32 v11, v46, v11
	s_mov_b32 s13, 0
	v_cndmask_b32_e32 v118, 0, v118, vcc_lo
	s_delay_alu instid0(VALU_DEP_1) | instskip(NEXT) | instid1(VALU_DEP_1)
	v_add3_u32 v42, v11, v118, v119
	v_ashrrev_i32_e32 v43, 31, v42
	s_delay_alu instid0(VALU_DEP_1)
	v_add_nc_u64_e32 v[114:115], v[42:43], v[114:115]
	v_add_nc_u64_e32 v[116:117], v[42:43], v[116:117]
	s_wait_dscnt 0x0
	v_add_nc_u64_e32 v[118:119], v[40:41], v[42:43]
.LBB2_377:                              ;   Parent Loop BB2_47 Depth=1
                                        ;     Parent Loop BB2_275 Depth=2
                                        ;       Parent Loop BB2_278 Depth=3
                                        ; =>      This Inner Loop Header: Depth=4
	flat_load_b64 v[40:41], v[114:115] th:TH_LOAD_NT
	flat_load_b64 v[42:43], v[118:119] th:TH_LOAD_NT
	v_sub_nc_u32_e32 v9, v9, v64
	s_wait_xcnt 0x1
	v_add_nc_u64_e32 v[114:115], v[114:115], v[64:65]
	s_wait_xcnt 0x0
	v_add_nc_u64_e32 v[118:119], v[118:119], v[64:65]
	v_cmp_gt_i32_e32 vcc_lo, 8, v9
	s_or_b32 s13, vcc_lo, s13
	s_wait_loadcnt_dscnt 0x0
	v_add_nc_u64_e32 v[40:41], v[42:43], v[40:41]
	flat_store_b64 v[116:117], v[40:41] th:TH_STORE_NT
	s_wait_xcnt 0x0
	v_add_nc_u64_e32 v[116:117], v[116:117], v[64:65]
	s_and_not1_b32 exec_lo, exec_lo, s13
	s_cbranch_execnz .LBB2_377
.LBB2_378:                              ;   in Loop: Header=BB2_278 Depth=3
	s_or_b32 exec_lo, exec_lo, s41
	v_cmp_lt_i32_e64 s13, 0, v2
	s_and_saveexec_b32 s41, s2
	s_cbranch_execz .LBB2_353
.LBB2_379:                              ;   in Loop: Header=BB2_278 Depth=3
	s_and_saveexec_b32 s44, s3
	s_delay_alu instid0(SALU_CYCLE_1)
	s_xor_b32 s44, exec_lo, s44
	s_cbranch_execz .LBB2_394
; %bb.380:                              ;   in Loop: Header=BB2_278 Depth=3
	s_and_saveexec_b32 s45, s6
	s_cbranch_execz .LBB2_393
; %bb.381:                              ;   in Loop: Header=BB2_278 Depth=3
	s_mov_b32 s47, exec_lo
	s_mov_b32 s46, exec_lo
	v_mbcnt_lo_u32_b32 v2, s47, 0
	global_wb scope:SCOPE_DEV
	s_wait_storecnt 0x0
	s_wait_loadcnt_dscnt 0x0
	global_inv scope:SCOPE_DEV
	v_cmpx_eq_u32_e32 0, v2
	s_cbranch_execz .LBB2_383
; %bb.382:                              ;   in Loop: Header=BB2_278 Depth=3
	s_bcnt1_i32_b32 s47, s47
	s_delay_alu instid0(SALU_CYCLE_1)
	v_mov_b32_e32 v2, s47
	s_wait_loadcnt 0x0
	ds_add_u64 v2, v[2:3]
	s_trap 2
.LBB2_383:                              ;   in Loop: Header=BB2_278 Depth=3
	s_or_b32 exec_lo, exec_lo, s46
	s_trap 2
	ds_load_b64 v[114:115], v2
	s_wait_dscnt 0x0
	v_add_nc_u64_e32 v[12:13], v[12:13], v[32:33]
	s_mov_b32 s46, exec_lo
	s_delay_alu instid0(VALU_DEP_1)
	v_cmpx_lt_u64_e64 v[114:115], v[12:13]
	s_cbranch_execz .LBB2_392
; %bb.384:                              ;   in Loop: Header=BB2_278 Depth=3
	s_mov_b32 s47, 0
	s_mov_b32 s76, 0
                                        ; implicit-def: $sgpr74
                                        ; implicit-def: $sgpr75
	s_branch .LBB2_386
.LBB2_385:                              ;   in Loop: Header=BB2_386 Depth=4
	s_or_b32 exec_lo, exec_lo, s78
	s_delay_alu instid0(SALU_CYCLE_1) | instskip(NEXT) | instid1(SALU_CYCLE_1)
	s_and_b32 s77, exec_lo, s79
	s_or_b32 s47, s77, s47
	s_and_not1_b32 s74, s74, exec_lo
	s_and_b32 s77, s75, exec_lo
	s_delay_alu instid0(SALU_CYCLE_1)
	s_or_b32 s74, s74, s77
	s_and_not1_b32 exec_lo, exec_lo, s47
	s_cbranch_execz .LBB2_390
.LBB2_386:                              ;   Parent Loop BB2_47 Depth=1
                                        ;     Parent Loop BB2_275 Depth=2
                                        ;       Parent Loop BB2_278 Depth=3
                                        ; =>      This Inner Loop Header: Depth=4
	s_add_co_i32 s76, s76, 1
	s_delay_alu instid0(SALU_CYCLE_1) | instskip(SKIP_1) | instid1(SALU_CYCLE_1)
	s_cmp_lg_u32 s76, 0x2710
	s_cselect_b32 s77, -1, 0
	s_and_b32 vcc_lo, exec_lo, s77
	s_cbranch_vccz .LBB2_388
; %bb.387:                              ;   in Loop: Header=BB2_386 Depth=4
	s_mov_b32 s79, -1
	s_or_b32 s75, s75, exec_lo
	s_and_saveexec_b32 s78, s77
	s_cbranch_execz .LBB2_385
	s_branch .LBB2_389
.LBB2_388:                              ;   in Loop: Header=BB2_386 Depth=4
	s_trap 2
	ds_load_b64 v[114:115], v2
	s_and_not1_b32 s77, s77, exec_lo
	s_mov_b32 s76, 0
	s_wait_loadcnt_dscnt 0x0
	flat_load_b32 v2, v[114:115] scope:SCOPE_SYS
	s_wait_loadcnt_dscnt 0x0
	global_inv scope:SCOPE_SYS
	v_cmp_eq_u32_e32 vcc_lo, 0, v2
	s_and_b32 s78, vcc_lo, exec_lo
	s_delay_alu instid0(SALU_CYCLE_1)
	s_or_b32 s77, s77, s78
	s_mov_b32 s79, -1
	s_or_b32 s75, s75, exec_lo
	s_and_saveexec_b32 s78, s77
	s_cbranch_execz .LBB2_385
.LBB2_389:                              ;   in Loop: Header=BB2_386 Depth=4
	s_sleep 1
	s_trap 2
	ds_load_b64 v[114:115], v2
	s_wait_dscnt 0x0
	s_and_not1_b32 s75, s75, exec_lo
	v_cmp_ge_u64_e32 vcc_lo, v[114:115], v[12:13]
	s_or_not1_b32 s79, vcc_lo, exec_lo
	s_branch .LBB2_385
.LBB2_390:                              ;   in Loop: Header=BB2_278 Depth=3
	s_or_b32 exec_lo, exec_lo, s47
	s_and_saveexec_b32 s47, s74
	s_delay_alu instid0(SALU_CYCLE_1)
	s_xor_b32 s47, exec_lo, s47
	s_cbranch_execz .LBB2_392
; %bb.391:                              ;   in Loop: Header=BB2_278 Depth=3
	ds_store_b32 v2, v75
	s_trap 2
.LBB2_392:                              ;   in Loop: Header=BB2_278 Depth=3
	s_or_b32 exec_lo, exec_lo, s46
	;;#ASMSTART
	s_wakeup
	;;#ASMEND
.LBB2_393:                              ;   in Loop: Header=BB2_278 Depth=3
	s_or_b32 exec_lo, exec_lo, s45
.LBB2_394:                              ;   in Loop: Header=BB2_278 Depth=3
	s_and_not1_saveexec_b32 s44, s44
	s_cbranch_execz .LBB2_396
; %bb.395:                              ;   in Loop: Header=BB2_278 Depth=3
	global_wb scope:SCOPE_DEV
	s_wait_storecnt 0x0
	s_wait_loadcnt_dscnt 0x0
	global_inv scope:SCOPE_DEV
	s_barrier_signal -1
	s_barrier_wait -1
.LBB2_396:                              ;   in Loop: Header=BB2_278 Depth=3
	s_or_b32 exec_lo, exec_lo, s44
	s_delay_alu instid0(SALU_CYCLE_1) | instskip(SKIP_1) | instid1(SALU_CYCLE_1)
	s_or_b32 exec_lo, exec_lo, s41
                                        ; implicit-def: $vgpr2
	s_and_saveexec_b32 s41, s12
	s_xor_b32 s41, exec_lo, s41
	s_cbranch_execnz .LBB2_354
.LBB2_397:                              ;   in Loop: Header=BB2_278 Depth=3
	s_and_not1_saveexec_b32 s13, s41
	s_cbranch_execz .LBB2_416
.LBB2_398:                              ;   in Loop: Header=BB2_278 Depth=3
	s_and_saveexec_b32 s41, s3
	s_delay_alu instid0(SALU_CYCLE_1)
	s_xor_b32 s41, exec_lo, s41
	s_cbranch_execz .LBB2_413
; %bb.399:                              ;   in Loop: Header=BB2_278 Depth=3
	s_and_saveexec_b32 s44, s6
	s_cbranch_execz .LBB2_412
; %bb.400:                              ;   in Loop: Header=BB2_278 Depth=3
	s_mov_b32 s46, exec_lo
	s_mov_b32 s45, exec_lo
	v_mbcnt_lo_u32_b32 v2, s46, 0
	;;#ASMSTART
	s_waitcnt lgkmcnt(0) vmcnt(0)
	;;#ASMEND
	s_delay_alu instid0(VALU_DEP_1)
	v_cmpx_eq_u32_e32 0, v2
	s_cbranch_execz .LBB2_402
; %bb.401:                              ;   in Loop: Header=BB2_278 Depth=3
	s_bcnt1_i32_b32 s46, s46
	s_delay_alu instid0(SALU_CYCLE_1)
	v_mov_b32_e32 v2, s46
	s_wait_storecnt 0x0
	s_wait_loadcnt_dscnt 0x0
	ds_add_u64 v2, v[2:3]
	s_trap 2
.LBB2_402:                              ;   in Loop: Header=BB2_278 Depth=3
	s_or_b32 exec_lo, exec_lo, s45
	s_trap 2
	ds_load_b64 v[114:115], v2
	s_wait_dscnt 0x0
	v_add_nc_u64_e32 v[12:13], v[12:13], v[32:33]
	s_mov_b32 s45, exec_lo
	s_delay_alu instid0(VALU_DEP_1)
	v_cmpx_lt_u64_e64 v[114:115], v[12:13]
	s_cbranch_execz .LBB2_411
; %bb.403:                              ;   in Loop: Header=BB2_278 Depth=3
	s_mov_b32 s46, 0
	s_mov_b32 s75, 0
                                        ; implicit-def: $sgpr47
                                        ; implicit-def: $sgpr74
	s_branch .LBB2_405
.LBB2_404:                              ;   in Loop: Header=BB2_405 Depth=4
	s_or_b32 exec_lo, exec_lo, s77
	s_delay_alu instid0(SALU_CYCLE_1) | instskip(NEXT) | instid1(SALU_CYCLE_1)
	s_and_b32 s76, exec_lo, s78
	s_or_b32 s46, s76, s46
	s_and_not1_b32 s47, s47, exec_lo
	s_and_b32 s76, s74, exec_lo
	s_delay_alu instid0(SALU_CYCLE_1)
	s_or_b32 s47, s47, s76
	s_and_not1_b32 exec_lo, exec_lo, s46
	s_cbranch_execz .LBB2_409
.LBB2_405:                              ;   Parent Loop BB2_47 Depth=1
                                        ;     Parent Loop BB2_275 Depth=2
                                        ;       Parent Loop BB2_278 Depth=3
                                        ; =>      This Inner Loop Header: Depth=4
	s_add_co_i32 s75, s75, 1
	s_delay_alu instid0(SALU_CYCLE_1) | instskip(SKIP_1) | instid1(SALU_CYCLE_1)
	s_cmp_lg_u32 s75, 0x2710
	s_cselect_b32 s76, -1, 0
	s_and_b32 vcc_lo, exec_lo, s76
	s_cbranch_vccz .LBB2_407
; %bb.406:                              ;   in Loop: Header=BB2_405 Depth=4
	s_mov_b32 s78, -1
	s_or_b32 s74, s74, exec_lo
	s_and_saveexec_b32 s77, s76
	s_cbranch_execz .LBB2_404
	s_branch .LBB2_408
.LBB2_407:                              ;   in Loop: Header=BB2_405 Depth=4
	s_trap 2
	ds_load_b64 v[114:115], v2
	s_and_not1_b32 s76, s76, exec_lo
	s_mov_b32 s75, 0
	s_wait_storecnt 0x0
	s_wait_loadcnt_dscnt 0x0
	flat_load_b32 v2, v[114:115] scope:SCOPE_SYS
	s_wait_loadcnt_dscnt 0x0
	global_inv scope:SCOPE_SYS
	v_cmp_eq_u32_e32 vcc_lo, 0, v2
	s_and_b32 s77, vcc_lo, exec_lo
	s_delay_alu instid0(SALU_CYCLE_1)
	s_or_b32 s76, s76, s77
	s_mov_b32 s78, -1
	s_or_b32 s74, s74, exec_lo
	s_and_saveexec_b32 s77, s76
	s_cbranch_execz .LBB2_404
.LBB2_408:                              ;   in Loop: Header=BB2_405 Depth=4
	s_sleep 1
	s_trap 2
	ds_load_b64 v[114:115], v2
	s_wait_dscnt 0x0
	s_and_not1_b32 s74, s74, exec_lo
	v_cmp_ge_u64_e32 vcc_lo, v[114:115], v[12:13]
	s_or_not1_b32 s78, vcc_lo, exec_lo
	s_branch .LBB2_404
.LBB2_409:                              ;   in Loop: Header=BB2_278 Depth=3
	s_or_b32 exec_lo, exec_lo, s46
	s_and_saveexec_b32 s46, s47
	s_delay_alu instid0(SALU_CYCLE_1)
	s_xor_b32 s46, exec_lo, s46
	s_cbranch_execz .LBB2_411
; %bb.410:                              ;   in Loop: Header=BB2_278 Depth=3
	ds_store_b32 v2, v75
	s_trap 2
.LBB2_411:                              ;   in Loop: Header=BB2_278 Depth=3
	s_or_b32 exec_lo, exec_lo, s45
	;;#ASMSTART
	s_wakeup
	;;#ASMEND
.LBB2_412:                              ;   in Loop: Header=BB2_278 Depth=3
	s_or_b32 exec_lo, exec_lo, s44
.LBB2_413:                              ;   in Loop: Header=BB2_278 Depth=3
	s_and_not1_saveexec_b32 s41, s41
	s_cbranch_execz .LBB2_415
; %bb.414:                              ;   in Loop: Header=BB2_278 Depth=3
	;;#ASMSTART
	s_waitcnt lgkmcnt(0) vmcnt(0)
	;;#ASMEND
	s_barrier_signal -1
	s_barrier_wait -1
.LBB2_415:                              ;   in Loop: Header=BB2_278 Depth=3
	s_or_b32 exec_lo, exec_lo, s41
	v_and_b32_e32 v2, 16, v30
.LBB2_416:                              ;   in Loop: Header=BB2_278 Depth=3
	s_or_b32 exec_lo, exec_lo, s13
	s_delay_alu instid0(VALU_DEP_1) | instskip(SKIP_1) | instid1(SALU_CYCLE_1)
	v_cmp_ne_u32_e32 vcc_lo, 0, v2
	s_xor_b32 s13, s4, -1
	s_and_b32 s41, vcc_lo, s13
	s_delay_alu instid0(SALU_CYCLE_1)
	s_and_saveexec_b32 s13, s41
	s_cbranch_execz .LBB2_418
; %bb.417:                              ;   in Loop: Header=BB2_278 Depth=3
	global_wb scope:SCOPE_SYS
	s_wait_storecnt 0x0
	s_wait_loadcnt_dscnt 0x0
	flat_store_b32 v[26:27], v75 scope:SCOPE_SYS
.LBB2_418:                              ;   in Loop: Header=BB2_278 Depth=3
	s_wait_xcnt 0x0
	s_or_b32 exec_lo, exec_lo, s13
	v_and_b32_e32 v2, 48, v30
	s_mov_b32 s13, exec_lo
	s_delay_alu instid0(VALU_DEP_1)
	v_cmpx_ne_u32_e32 0, v2
	s_cbranch_execz .LBB2_277
; %bb.419:                              ;   in Loop: Header=BB2_278 Depth=3
	v_add_nc_u64_e32 v[98:99], 2, v[98:99]
	global_wb scope:SCOPE_SYS
	s_wait_storecnt 0x0
	s_wait_loadcnt_dscnt 0x0
	flat_store_b64 v[20:21], v[98:99] scope:SCOPE_SYS
	s_branch .LBB2_277
.LBB2_420:                              ;   in Loop: Header=BB2_275 Depth=2
	s_or_b32 exec_lo, exec_lo, s16
.LBB2_421:                              ;   in Loop: Header=BB2_275 Depth=2
	s_delay_alu instid0(SALU_CYCLE_1) | instskip(NEXT) | instid1(SALU_CYCLE_1)
	s_or_b32 exec_lo, exec_lo, s15
	s_mov_b32 s15, exec_lo
	v_cmpx_gt_i32_e32 2, v2
	s_cbranch_execz .LBB2_274
; %bb.422:                              ;   in Loop: Header=BB2_275 Depth=2
	v_cmp_eq_u32_e64 s17, 0, v2
	s_mov_b32 s16, 0
	s_branch .LBB2_424
.LBB2_423:                              ;   in Loop: Header=BB2_424 Depth=3
	s_wait_xcnt 0x0
	s_or_b32 exec_lo, exec_lo, s13
	v_add_nc_u32_e32 v10, v8, v10
	s_mov_b32 s17, 0
	s_and_not1_b32 exec_lo, exec_lo, s16
	s_cbranch_execz .LBB2_273
.LBB2_424:                              ;   Parent Loop BB2_47 Depth=1
                                        ;     Parent Loop BB2_275 Depth=2
                                        ; =>    This Loop Header: Depth=3
                                        ;         Child Loop BB2_430 Depth 4
                                        ;         Child Loop BB2_458 Depth 4
	;; [unrolled: 1-line block ×3, first 2 shown]
	s_delay_alu instid0(VALU_DEP_1) | instskip(SKIP_2) | instid1(VALU_DEP_2)
	v_sub_nc_u32_e32 v2, v44, v10
	v_and_b32_e32 v9, 12, v30
	s_mov_b32 s20, exec_lo
	v_min_i32_e32 v8, v8, v2
	s_delay_alu instid0(VALU_DEP_2)
	v_cmpx_ne_u32_e32 0, v9
	s_cbranch_execz .LBB2_450
; %bb.425:                              ;   in Loop: Header=BB2_424 Depth=3
	v_and_b32_e32 v2, 8, v30
	v_add_nc_u64_e32 v[112:113], 2, v[98:99]
	s_mov_b32 s41, exec_lo
	s_wait_loadcnt_dscnt 0x1
	s_delay_alu instid0(VALU_DEP_2) | instskip(NEXT) | instid1(VALU_DEP_1)
	v_add_nc_u64_e32 v[114:115], v[28:29], v[2:3]
	v_cmpx_lt_u64_e64 v[114:115], v[112:113]
	s_cbranch_execz .LBB2_437
; %bb.426:                              ;   in Loop: Header=BB2_424 Depth=3
	v_and_b32_e32 v9, 64, v30
	s_mov_b32 s44, 0
	s_mov_b32 s74, 0
                                        ; implicit-def: $sgpr45
                                        ; implicit-def: $sgpr46
                                        ; implicit-def: $sgpr47
	s_delay_alu instid0(VALU_DEP_1)
	v_cmp_eq_u32_e32 vcc_lo, 0, v9
	s_branch .LBB2_430
.LBB2_427:                              ;   in Loop: Header=BB2_430 Depth=4
	s_wait_loadcnt_dscnt 0x0
	v_add_nc_u64_e32 v[114:115], v[28:29], v[2:3]
	s_or_b32 s77, s77, exec_lo
	s_delay_alu instid0(VALU_DEP_1)
	v_cmp_ge_u64_e64 s13, v[114:115], v[112:113]
	s_or_not1_b32 s76, s13, exec_lo
.LBB2_428:                              ;   in Loop: Header=BB2_430 Depth=4
	s_or_b32 exec_lo, exec_lo, s79
	s_delay_alu instid0(SALU_CYCLE_1)
	s_and_not1_b32 s13, s47, exec_lo
	s_and_b32 s47, s77, exec_lo
	s_and_not1_b32 s46, s46, exec_lo
	s_and_b32 s76, s76, exec_lo
	s_or_b32 s47, s13, s47
	s_or_b32 s46, s46, s76
.LBB2_429:                              ;   in Loop: Header=BB2_430 Depth=4
	s_or_b32 exec_lo, exec_lo, s75
	s_delay_alu instid0(SALU_CYCLE_1) | instskip(NEXT) | instid1(SALU_CYCLE_1)
	s_and_b32 s13, exec_lo, s46
	s_or_b32 s44, s13, s44
	s_and_not1_b32 s13, s45, exec_lo
	s_and_b32 s45, s47, exec_lo
	s_delay_alu instid0(SALU_CYCLE_1)
	s_or_b32 s45, s13, s45
	s_and_not1_b32 exec_lo, exec_lo, s44
	s_cbranch_execz .LBB2_434
.LBB2_430:                              ;   Parent Loop BB2_47 Depth=1
                                        ;     Parent Loop BB2_275 Depth=2
                                        ;       Parent Loop BB2_424 Depth=3
                                        ; =>      This Inner Loop Header: Depth=4
	s_sleep 1
	s_wait_loadcnt_dscnt 0x0
	flat_load_b64 v[28:29], v[20:21] scope:SCOPE_SYS
	s_or_b32 s47, s47, exec_lo
	s_or_b32 s46, s46, exec_lo
                                        ; implicit-def: $vgpr9
	s_wait_xcnt 0x0
	s_and_saveexec_b32 s75, vcc_lo
	s_cbranch_execz .LBB2_429
; %bb.431:                              ;   in Loop: Header=BB2_430 Depth=4
	s_cmp_lt_i32 s74, 0x270f
	s_mov_b32 s76, -1
	s_cselect_b32 s78, -1, 0
	s_cmp_gt_i32 s74, 0x270e
	s_cbranch_scc0 .LBB2_433
; %bb.432:                              ;   in Loop: Header=BB2_430 Depth=4
	s_trap 2
	ds_load_b64 v[114:115], v11
	s_and_not1_b32 s74, s78, exec_lo
	s_mov_b32 s77, 0
	s_wait_storecnt 0x0
	s_wait_loadcnt_dscnt 0x0
	flat_load_b32 v9, v[114:115] scope:SCOPE_SYS
	s_wait_loadcnt_dscnt 0x0
	global_inv scope:SCOPE_SYS
	v_cmp_eq_u32_e64 s13, 0, v9
	s_and_b32 s13, s13, exec_lo
	s_delay_alu instid0(SALU_CYCLE_1)
	s_or_b32 s78, s74, s13
	s_mov_b32 s74, 0
	s_and_saveexec_b32 s79, s78
	s_cbranch_execz .LBB2_428
	s_branch .LBB2_427
.LBB2_433:                              ;   in Loop: Header=BB2_430 Depth=4
	s_add_co_i32 s74, s74, 1
	s_mov_b32 s77, -1
                                        ; implicit-def: $vgpr9
	s_and_saveexec_b32 s79, s78
	s_cbranch_execz .LBB2_428
	s_branch .LBB2_427
.LBB2_434:                              ;   in Loop: Header=BB2_424 Depth=3
	s_or_b32 exec_lo, exec_lo, s44
	s_xor_b32 s13, s45, -1
	s_delay_alu instid0(SALU_CYCLE_1) | instskip(NEXT) | instid1(SALU_CYCLE_1)
	s_and_saveexec_b32 s44, s13
	s_xor_b32 s13, exec_lo, s44
	s_cbranch_execz .LBB2_436
; %bb.435:                              ;   in Loop: Header=BB2_424 Depth=3
	v_or_b32_e32 v30, 64, v30
	s_wait_storecnt 0x0
	s_wait_loadcnt_dscnt 0x0
	ds_store_b32 v11, v9
	s_trap 2
.LBB2_436:                              ;   in Loop: Header=BB2_424 Depth=3
	s_or_b32 exec_lo, exec_lo, s13
.LBB2_437:                              ;   in Loop: Header=BB2_424 Depth=3
	s_delay_alu instid0(SALU_CYCLE_1) | instskip(SKIP_3) | instid1(VALU_DEP_1)
	s_or_b32 exec_lo, exec_lo, s41
	v_and_b32_e32 v9, 0x108, v30
	s_mov_b32 s13, exec_lo
	;;#ASMSTART
	s_wakeup
	;;#ASMEND
                                        ; implicit-def: $vgpr114_vgpr115
	v_cmpx_ne_u32_e32 0x108, v9
	s_xor_b32 s13, exec_lo, s13
; %bb.438:                              ;   in Loop: Header=BB2_424 Depth=3
	v_dual_mov_b32 v115, v3 :: v_dual_bitop2_b32 v114, 7, v98 bitop3:0x40
                                        ; implicit-def: $vgpr98_vgpr99
; %bb.439:                              ;   in Loop: Header=BB2_424 Depth=3
	s_and_not1_saveexec_b32 s13, s13
	s_cbranch_execz .LBB2_441
; %bb.440:                              ;   in Loop: Header=BB2_424 Depth=3
	v_dual_ashrrev_i32 v9, 31, v8 :: v_dual_bitop2_b32 v114, 7, v98 bitop3:0x40
	v_mov_b32_e32 v115, v3
	s_delay_alu instid0(VALU_DEP_2) | instskip(NEXT) | instid1(VALU_DEP_3)
	v_mad_nc_u64_u32 v[98:99], v114, 24, v[6:7]
	v_lshlrev_b64_e32 v[116:117], 3, v[8:9]
	flat_store_b64 v[98:99], v[116:117] offset:8
.LBB2_441:                              ;   in Loop: Header=BB2_424 Depth=3
	s_wait_xcnt 0x0
	s_or_b32 exec_lo, exec_lo, s13
	v_and_b32_e32 v9, 0x100, v30
	s_mov_b32 s13, -1
	s_mov_b32 s41, exec_lo
                                        ; implicit-def: $vgpr98_vgpr99
	s_delay_alu instid0(VALU_DEP_1)
	v_cmpx_ne_u32_e32 0, v9
	s_cbranch_execz .LBB2_445
; %bb.442:                              ;   in Loop: Header=BB2_424 Depth=3
	v_mad_nc_u64_u32 v[116:117], v114, 24, v[6:7]
	s_mov_b32 s44, exec_lo
                                        ; implicit-def: $vgpr98_vgpr99
	s_delay_alu instid0(VALU_DEP_1)
	v_mad_u32 v117, v115, 24, v117
	flat_load_b32 v9, v[116:117]
	s_wait_loadcnt_dscnt 0x0
	v_cmp_ne_u32_e32 vcc_lo, 1, v9
	s_wait_xcnt 0x0
	v_cmpx_eq_u32_e32 1, v9
	s_cbranch_execz .LBB2_444
; %bb.443:                              ;   in Loop: Header=BB2_424 Depth=3
	flat_load_b32 v98, v[116:117] offset:4 scope:SCOPE_SYS
	s_wait_loadcnt_dscnt 0x0
	v_ashrrev_i32_e32 v99, 31, v98
	s_delay_alu instid0(VALU_DEP_1)
	v_lshrrev_b64 v[98:99], 3, v[98:99]
.LBB2_444:                              ;   in Loop: Header=BB2_424 Depth=3
	s_wait_xcnt 0x0
	s_or_b32 exec_lo, exec_lo, s44
	s_delay_alu instid0(SALU_CYCLE_1)
	s_or_not1_b32 s13, vcc_lo, exec_lo
.LBB2_445:                              ;   in Loop: Header=BB2_424 Depth=3
	s_or_b32 exec_lo, exec_lo, s41
	s_and_saveexec_b32 s41, s13
; %bb.446:                              ;   in Loop: Header=BB2_424 Depth=3
	v_mul_u64_e32 v[98:99], v[114:115], v[22:23]
; %bb.447:                              ;   in Loop: Header=BB2_424 Depth=3
	s_or_b32 exec_lo, exec_lo, s41
	v_cmp_eq_u32_e32 vcc_lo, 0, v2
	v_and_b32_e32 v9, 0x2000, v30
	s_delay_alu instid0(VALU_DEP_3) | instskip(SKIP_2) | instid1(VALU_DEP_1)
	v_lshl_add_u64 v[98:99], v[98:99], 3, v[24:25]
	s_mov_b32 s13, exec_lo
	v_cndmask_b32_e32 v2, 0xc8, v76, vcc_lo
	v_add_nc_u32_e32 v2, v0, v2
	ds_store_b64 v2, v[98:99] offset:584
	v_cmpx_ne_u32_e32 0, v9
	s_cbranch_execz .LBB2_449
; %bb.448:                              ;   in Loop: Header=BB2_424 Depth=3
	ds_load_b64 v[98:99], v0 offset:872
	s_wait_dscnt 0x0
	v_add_nc_u64_e32 v[98:99], 1, v[98:99]
	ds_store_b64 v0, v[98:99] offset:872
.LBB2_449:                              ;   in Loop: Header=BB2_424 Depth=3
	s_or_b32 exec_lo, exec_lo, s13
	v_mov_b64_e32 v[98:99], v[112:113]
.LBB2_450:                              ;   in Loop: Header=BB2_424 Depth=3
	s_or_b32 exec_lo, exec_lo, s20
	s_xor_b32 s13, s17, -1
	s_delay_alu instid0(SALU_CYCLE_1) | instskip(NEXT) | instid1(SALU_CYCLE_1)
	s_and_b32 s13, exec_lo, s13
	s_or_b32 s16, s13, s16
	s_and_saveexec_b32 s13, s2
	s_cbranch_execz .LBB2_469
; %bb.451:                              ;   in Loop: Header=BB2_424 Depth=3
	s_and_saveexec_b32 s17, s3
	s_delay_alu instid0(SALU_CYCLE_1)
	s_xor_b32 s17, exec_lo, s17
	s_cbranch_execz .LBB2_466
; %bb.452:                              ;   in Loop: Header=BB2_424 Depth=3
	s_and_saveexec_b32 s20, s6
	s_cbranch_execz .LBB2_465
; %bb.453:                              ;   in Loop: Header=BB2_424 Depth=3
	s_mov_b32 s44, exec_lo
	s_mov_b32 s41, exec_lo
	v_mbcnt_lo_u32_b32 v2, s44, 0
	global_wb scope:SCOPE_DEV
	s_wait_storecnt 0x0
	s_wait_loadcnt_dscnt 0x0
	global_inv scope:SCOPE_DEV
	v_cmpx_eq_u32_e32 0, v2
	s_cbranch_execz .LBB2_455
; %bb.454:                              ;   in Loop: Header=BB2_424 Depth=3
	s_bcnt1_i32_b32 s44, s44
	s_delay_alu instid0(SALU_CYCLE_1)
	v_mov_b32_e32 v2, s44
	s_wait_loadcnt 0x0
	ds_add_u64 v2, v[2:3]
	s_trap 2
.LBB2_455:                              ;   in Loop: Header=BB2_424 Depth=3
	s_or_b32 exec_lo, exec_lo, s41
	s_trap 2
	ds_load_b64 v[112:113], v2
	s_wait_dscnt 0x0
	v_add_nc_u64_e32 v[12:13], v[12:13], v[32:33]
	s_mov_b32 s41, exec_lo
	s_delay_alu instid0(VALU_DEP_1)
	v_cmpx_lt_u64_e64 v[112:113], v[12:13]
	s_cbranch_execz .LBB2_464
; %bb.456:                              ;   in Loop: Header=BB2_424 Depth=3
	s_mov_b32 s44, 0
	s_mov_b32 s47, 0
                                        ; implicit-def: $sgpr45
                                        ; implicit-def: $sgpr46
	s_branch .LBB2_458
.LBB2_457:                              ;   in Loop: Header=BB2_458 Depth=4
	s_or_b32 exec_lo, exec_lo, s75
	s_delay_alu instid0(SALU_CYCLE_1) | instskip(NEXT) | instid1(SALU_CYCLE_1)
	s_and_b32 s74, exec_lo, s76
	s_or_b32 s44, s74, s44
	s_and_not1_b32 s45, s45, exec_lo
	s_and_b32 s74, s46, exec_lo
	s_delay_alu instid0(SALU_CYCLE_1)
	s_or_b32 s45, s45, s74
	s_and_not1_b32 exec_lo, exec_lo, s44
	s_cbranch_execz .LBB2_462
.LBB2_458:                              ;   Parent Loop BB2_47 Depth=1
                                        ;     Parent Loop BB2_275 Depth=2
                                        ;       Parent Loop BB2_424 Depth=3
                                        ; =>      This Inner Loop Header: Depth=4
	s_add_co_i32 s47, s47, 1
	s_delay_alu instid0(SALU_CYCLE_1) | instskip(SKIP_1) | instid1(SALU_CYCLE_1)
	s_cmp_lg_u32 s47, 0x2710
	s_cselect_b32 s74, -1, 0
	s_and_b32 vcc_lo, exec_lo, s74
	s_cbranch_vccz .LBB2_460
; %bb.459:                              ;   in Loop: Header=BB2_458 Depth=4
	s_mov_b32 s76, -1
	s_or_b32 s46, s46, exec_lo
	s_and_saveexec_b32 s75, s74
	s_cbranch_execz .LBB2_457
	s_branch .LBB2_461
.LBB2_460:                              ;   in Loop: Header=BB2_458 Depth=4
	s_trap 2
	ds_load_b64 v[112:113], v2
	s_and_not1_b32 s74, s74, exec_lo
	s_mov_b32 s47, 0
	s_wait_loadcnt_dscnt 0x0
	flat_load_b32 v2, v[112:113] scope:SCOPE_SYS
	s_wait_loadcnt_dscnt 0x0
	global_inv scope:SCOPE_SYS
	v_cmp_eq_u32_e32 vcc_lo, 0, v2
	s_and_b32 s75, vcc_lo, exec_lo
	s_delay_alu instid0(SALU_CYCLE_1)
	s_or_b32 s74, s74, s75
	s_mov_b32 s76, -1
	s_or_b32 s46, s46, exec_lo
	s_and_saveexec_b32 s75, s74
	s_cbranch_execz .LBB2_457
.LBB2_461:                              ;   in Loop: Header=BB2_458 Depth=4
	s_sleep 1
	s_trap 2
	ds_load_b64 v[112:113], v2
	s_wait_dscnt 0x0
	s_and_not1_b32 s46, s46, exec_lo
	v_cmp_ge_u64_e32 vcc_lo, v[112:113], v[12:13]
	s_or_not1_b32 s76, vcc_lo, exec_lo
	s_branch .LBB2_457
.LBB2_462:                              ;   in Loop: Header=BB2_424 Depth=3
	s_or_b32 exec_lo, exec_lo, s44
	s_and_saveexec_b32 s44, s45
	s_delay_alu instid0(SALU_CYCLE_1)
	s_xor_b32 s44, exec_lo, s44
	s_cbranch_execz .LBB2_464
; %bb.463:                              ;   in Loop: Header=BB2_424 Depth=3
	ds_store_b32 v2, v75
	s_trap 2
.LBB2_464:                              ;   in Loop: Header=BB2_424 Depth=3
	s_or_b32 exec_lo, exec_lo, s41
	;;#ASMSTART
	s_wakeup
	;;#ASMEND
.LBB2_465:                              ;   in Loop: Header=BB2_424 Depth=3
	s_or_b32 exec_lo, exec_lo, s20
.LBB2_466:                              ;   in Loop: Header=BB2_424 Depth=3
	s_and_not1_saveexec_b32 s17, s17
	s_cbranch_execz .LBB2_468
; %bb.467:                              ;   in Loop: Header=BB2_424 Depth=3
	global_wb scope:SCOPE_DEV
	s_wait_storecnt 0x0
	s_wait_loadcnt_dscnt 0x0
	global_inv scope:SCOPE_DEV
	s_barrier_signal -1
	s_barrier_wait -1
.LBB2_468:                              ;   in Loop: Header=BB2_424 Depth=3
	s_or_b32 exec_lo, exec_lo, s17
.LBB2_469:                              ;   in Loop: Header=BB2_424 Depth=3
	s_delay_alu instid0(SALU_CYCLE_1) | instskip(SKIP_1) | instid1(SALU_CYCLE_1)
	s_or_b32 exec_lo, exec_lo, s13
                                        ; implicit-def: $vgpr2
	s_and_saveexec_b32 s13, s61
	s_xor_b32 s13, exec_lo, s13
	s_cbranch_execz .LBB2_481
; %bb.470:                              ;   in Loop: Header=BB2_424 Depth=3
	s_and_saveexec_b32 s17, s3
	s_delay_alu instid0(SALU_CYCLE_1)
	s_xor_b32 s17, exec_lo, s17
	s_cbranch_execz .LBB2_486
; %bb.471:                              ;   in Loop: Header=BB2_424 Depth=3
	s_and_saveexec_b32 s20, s6
	s_cbranch_execz .LBB2_485
; %bb.472:                              ;   in Loop: Header=BB2_424 Depth=3
	s_mov_b32 s44, exec_lo
	s_mov_b32 s41, exec_lo
	v_mbcnt_lo_u32_b32 v2, s44, 0
	;;#ASMSTART
	s_waitcnt lgkmcnt(0) vmcnt(0)
	;;#ASMEND
	s_delay_alu instid0(VALU_DEP_1)
	v_cmpx_eq_u32_e32 0, v2
	s_cbranch_execz .LBB2_474
; %bb.473:                              ;   in Loop: Header=BB2_424 Depth=3
	s_bcnt1_i32_b32 s44, s44
	s_delay_alu instid0(SALU_CYCLE_1)
	v_mov_b32_e32 v2, s44
	s_wait_storecnt 0x0
	s_wait_loadcnt_dscnt 0x0
	ds_add_u64 v2, v[2:3]
	s_trap 2
.LBB2_474:                              ;   in Loop: Header=BB2_424 Depth=3
	s_or_b32 exec_lo, exec_lo, s41
	s_trap 2
	ds_load_b64 v[112:113], v2
	s_wait_dscnt 0x0
	v_add_nc_u64_e32 v[12:13], v[12:13], v[32:33]
	s_mov_b32 s41, exec_lo
	s_delay_alu instid0(VALU_DEP_1)
	v_cmpx_lt_u64_e64 v[112:113], v[12:13]
	s_cbranch_execz .LBB2_484
; %bb.475:                              ;   in Loop: Header=BB2_424 Depth=3
	s_mov_b32 s44, 0
	s_mov_b32 s47, 0
                                        ; implicit-def: $sgpr45
                                        ; implicit-def: $sgpr46
	s_branch .LBB2_477
.LBB2_476:                              ;   in Loop: Header=BB2_477 Depth=4
	s_or_b32 exec_lo, exec_lo, s75
	s_delay_alu instid0(SALU_CYCLE_1) | instskip(NEXT) | instid1(SALU_CYCLE_1)
	s_and_b32 s74, exec_lo, s76
	s_or_b32 s44, s74, s44
	s_and_not1_b32 s45, s45, exec_lo
	s_and_b32 s74, s46, exec_lo
	s_delay_alu instid0(SALU_CYCLE_1)
	s_or_b32 s45, s45, s74
	s_and_not1_b32 exec_lo, exec_lo, s44
	s_cbranch_execz .LBB2_482
.LBB2_477:                              ;   Parent Loop BB2_47 Depth=1
                                        ;     Parent Loop BB2_275 Depth=2
                                        ;       Parent Loop BB2_424 Depth=3
                                        ; =>      This Inner Loop Header: Depth=4
	s_add_co_i32 s47, s47, 1
	s_delay_alu instid0(SALU_CYCLE_1) | instskip(SKIP_1) | instid1(SALU_CYCLE_1)
	s_cmp_lg_u32 s47, 0x2710
	s_cselect_b32 s74, -1, 0
	s_and_b32 vcc_lo, exec_lo, s74
	s_cbranch_vccz .LBB2_479
; %bb.478:                              ;   in Loop: Header=BB2_477 Depth=4
	s_mov_b32 s76, -1
	s_or_b32 s46, s46, exec_lo
	s_and_saveexec_b32 s75, s74
	s_cbranch_execz .LBB2_476
	s_branch .LBB2_480
.LBB2_479:                              ;   in Loop: Header=BB2_477 Depth=4
	s_trap 2
	ds_load_b64 v[112:113], v2
	s_and_not1_b32 s74, s74, exec_lo
	s_mov_b32 s47, 0
	s_wait_storecnt 0x0
	s_wait_loadcnt_dscnt 0x0
	flat_load_b32 v2, v[112:113] scope:SCOPE_SYS
	s_wait_loadcnt_dscnt 0x0
	global_inv scope:SCOPE_SYS
	v_cmp_eq_u32_e32 vcc_lo, 0, v2
	s_and_b32 s75, vcc_lo, exec_lo
	s_delay_alu instid0(SALU_CYCLE_1)
	s_or_b32 s74, s74, s75
	s_mov_b32 s76, -1
	s_or_b32 s46, s46, exec_lo
	s_and_saveexec_b32 s75, s74
	s_cbranch_execz .LBB2_476
.LBB2_480:                              ;   in Loop: Header=BB2_477 Depth=4
	s_sleep 1
	s_trap 2
	ds_load_b64 v[112:113], v2
	s_wait_dscnt 0x0
	s_and_not1_b32 s46, s46, exec_lo
	v_cmp_ge_u64_e32 vcc_lo, v[112:113], v[12:13]
	s_or_not1_b32 s76, vcc_lo, exec_lo
	s_branch .LBB2_476
.LBB2_481:                              ;   in Loop: Header=BB2_424 Depth=3
	s_and_not1_saveexec_b32 s17, s13
	s_cbranch_execnz .LBB2_489
	s_branch .LBB2_492
.LBB2_482:                              ;   in Loop: Header=BB2_424 Depth=3
	s_or_b32 exec_lo, exec_lo, s44
	s_and_saveexec_b32 s44, s45
	s_delay_alu instid0(SALU_CYCLE_1)
	s_xor_b32 s44, exec_lo, s44
	s_cbranch_execz .LBB2_484
; %bb.483:                              ;   in Loop: Header=BB2_424 Depth=3
	ds_store_b32 v2, v75
	s_trap 2
.LBB2_484:                              ;   in Loop: Header=BB2_424 Depth=3
	s_or_b32 exec_lo, exec_lo, s41
	;;#ASMSTART
	s_wakeup
	;;#ASMEND
.LBB2_485:                              ;   in Loop: Header=BB2_424 Depth=3
	s_or_b32 exec_lo, exec_lo, s20
.LBB2_486:                              ;   in Loop: Header=BB2_424 Depth=3
	s_and_not1_saveexec_b32 s17, s17
	s_cbranch_execz .LBB2_488
; %bb.487:                              ;   in Loop: Header=BB2_424 Depth=3
	;;#ASMSTART
	s_waitcnt lgkmcnt(0) vmcnt(0)
	;;#ASMEND
	s_barrier_signal -1
	s_barrier_wait -1
.LBB2_488:                              ;   in Loop: Header=BB2_424 Depth=3
	s_or_b32 exec_lo, exec_lo, s17
	v_and_b32_e32 v2, 16, v30
	s_and_not1_saveexec_b32 s17, s13
	s_cbranch_execz .LBB2_492
.LBB2_489:                              ;   in Loop: Header=BB2_424 Depth=3
	s_trap 2
	ds_load_b32 v2, v9
	v_cmp_lt_i32_e32 vcc_lo, 0, v8
	s_wait_dscnt 0x0
	v_readfirstlane_b32 s13, v2
	v_and_b32_e32 v2, 16, v30
	s_cmp_eq_u32 s13, 0
	s_delay_alu instid0(VALU_DEP_1) | instskip(SKIP_3) | instid1(SALU_CYCLE_1)
	v_cmp_ne_u32_e64 s13, 0, v2
	s_cselect_b32 s20, -1, 0
	v_and_b32_e32 v2, 16, v30
	s_and_b32 s20, vcc_lo, s20
	s_and_b32 s20, s13, s20
	s_delay_alu instid0(SALU_CYCLE_1)
	s_and_saveexec_b32 s13, s20
	s_cbranch_execz .LBB2_491
; %bb.490:                              ;   in Loop: Header=BB2_424 Depth=3
	v_mov_b32_e32 v2, 1
	global_wb scope:SCOPE_SYS
	s_wait_loadcnt 0x0
	s_wait_storecnt 0x0
	global_inv scope:SCOPE_SYS
.LBB2_491:                              ;   in Loop: Header=BB2_424 Depth=3
	s_or_b32 exec_lo, exec_lo, s13
.LBB2_492:                              ;   in Loop: Header=BB2_424 Depth=3
	s_delay_alu instid0(SALU_CYCLE_1) | instskip(NEXT) | instid1(VALU_DEP_1)
	s_or_b32 exec_lo, exec_lo, s17
	v_cmp_ne_u32_e32 vcc_lo, 0, v2
	s_xor_b32 s13, s4, -1
	s_delay_alu instid0(SALU_CYCLE_1) | instskip(NEXT) | instid1(SALU_CYCLE_1)
	s_and_b32 s17, vcc_lo, s13
	s_and_saveexec_b32 s13, s17
	s_cbranch_execz .LBB2_494
; %bb.493:                              ;   in Loop: Header=BB2_424 Depth=3
	global_wb scope:SCOPE_SYS
	s_wait_storecnt 0x0
	s_wait_loadcnt_dscnt 0x0
	flat_store_b32 v[26:27], v75 scope:SCOPE_SYS
.LBB2_494:                              ;   in Loop: Header=BB2_424 Depth=3
	s_wait_xcnt 0x0
	s_or_b32 exec_lo, exec_lo, s13
	v_and_b32_e32 v2, 48, v30
	s_mov_b32 s13, exec_lo
	s_delay_alu instid0(VALU_DEP_1)
	v_cmpx_ne_u32_e32 0, v2
	s_cbranch_execz .LBB2_423
; %bb.495:                              ;   in Loop: Header=BB2_424 Depth=3
	v_add_nc_u64_e32 v[98:99], 2, v[98:99]
	global_wb scope:SCOPE_SYS
	s_wait_storecnt 0x0
	s_wait_loadcnt_dscnt 0x0
	flat_store_b64 v[20:21], v[98:99] scope:SCOPE_SYS
	s_branch .LBB2_423
.LBB2_496:                              ;   in Loop: Header=BB2_47 Depth=1
	v_mul_u64_e32 v[8:9], s[18:19], v[96:97]
	v_mov_b32_e32 v114, 0
	s_delay_alu instid0(VALU_DEP_2) | instskip(NEXT) | instid1(VALU_DEP_1)
	v_sub_nc_u64_e32 v[10:11], v[100:101], v[8:9]
	v_min_i64 v[10:11], v[96:97], v[10:11]
	s_delay_alu instid0(VALU_DEP_1) | instskip(SKIP_1) | instid1(VALU_DEP_2)
	v_max_i32_e32 v78, 0, v10
	v_cmp_lt_i32_e32 vcc_lo, 0, v10
	v_add_nc_u32_e32 v2, 31, v78
	s_and_b32 s13, s63, vcc_lo
	s_delay_alu instid0(VALU_DEP_1) | instskip(NEXT) | instid1(VALU_DEP_1)
	v_lshrrev_b32_e32 v2, 1, v2
	v_and_b32_e32 v11, 0x3ffffff0, v2
	s_delay_alu instid0(VALU_DEP_1)
	v_dual_mov_b32 v2, 0 :: v_dual_max_i32 v112, s59, v11
	s_and_saveexec_b32 s41, s13
	s_cbranch_execz .LBB2_725
; %bb.497:                              ;   in Loop: Header=BB2_47 Depth=1
	v_add_nc_u64_e32 v[8:9], v[8:9], v[102:103]
	v_mov_b32_e32 v114, 0
	s_mov_b32 s76, 1
	s_mov_b32 s75, -1
	s_mov_b32 s74, 0
	s_delay_alu instid0(VALU_DEP_2)
	v_lshlrev_b64_e32 v[116:117], 3, v[8:9]
	s_branch .LBB2_499
.LBB2_498:                              ;   in Loop: Header=BB2_499 Depth=2
	s_wait_xcnt 0x0
	s_or_b32 exec_lo, exec_lo, s13
	v_dual_add_nc_u32 v114, v112, v114 :: v_dual_mov_b32 v2, s76
	s_xor_b32 s13, s75, -1
	s_mov_b32 s75, 0
	s_mov_b32 s76, 2
	s_delay_alu instid0(VALU_DEP_1) | instskip(SKIP_1) | instid1(SALU_CYCLE_1)
	v_cmp_ge_i32_e32 vcc_lo, v114, v78
	s_or_b32 s13, s13, vcc_lo
	s_and_b32 s13, exec_lo, s13
	s_delay_alu instid0(SALU_CYCLE_1) | instskip(NEXT) | instid1(SALU_CYCLE_1)
	s_or_b32 s74, s13, s74
	s_and_not1_b32 exec_lo, exec_lo, s74
	s_cbranch_execz .LBB2_724
.LBB2_499:                              ;   Parent Loop BB2_47 Depth=1
                                        ; =>  This Loop Header: Depth=2
                                        ;       Child Loop BB2_507 Depth 3
                                        ;       Child Loop BB2_535 Depth 3
	;; [unrolled: 1-line block ×4, first 2 shown]
                                        ;         Child Loop BB2_589 Depth 4
                                        ;       Child Loop BB2_600 Depth 3
                                        ;         Child Loop BB2_601 Depth 4
                                        ;       Child Loop BB2_615 Depth 3
	;; [unrolled: 2-line block ×4, first 2 shown]
                                        ;       Child Loop BB2_658 Depth 3
                                        ;       Child Loop BB2_671 Depth 3
	;; [unrolled: 1-line block ×5, first 2 shown]
	s_and_saveexec_b32 s13, s0
	s_cbranch_execz .LBB2_501
; %bb.500:                              ;   in Loop: Header=BB2_499 Depth=2
	s_trap 2
	ds_load_b64 v[118:119], v2
	ds_load_2addr_b64 v[8:11], v2 offset1:1
	s_wait_dscnt 0x1
	v_cmp_ne_u64_e32 vcc_lo, 0, v[118:119]
	v_ashrrev_i32_e32 v115, 31, v114
	v_add_nc_u64_e32 v[42:43], v[118:119], v[116:117]
	s_wait_dscnt 0x0
	v_add_nc_u64_e32 v[8:9], v[8:9], v[116:117]
	v_add_nc_u64_e32 v[10:11], v[10:11], v[116:117]
	v_lshlrev_b64_e32 v[40:41], 3, v[114:115]
	s_delay_alu instid0(VALU_DEP_1) | instskip(NEXT) | instid1(VALU_DEP_4)
	v_add_nc_u64_e32 v[42:43], v[42:43], v[40:41]
	v_add_nc_u64_e32 v[8:9], v[8:9], v[40:41]
	s_delay_alu instid0(VALU_DEP_4) | instskip(NEXT) | instid1(VALU_DEP_3)
	v_add_nc_u64_e32 v[10:11], v[10:11], v[40:41]
	v_dual_cndmask_b32 v119, 0, v43 :: v_dual_cndmask_b32 v118, 0, v42
	ds_store_b64 v2, v[8:9]
	ds_store_b64 v2, v[10:11]
	;; [unrolled: 1-line block ×3, first 2 shown]
.LBB2_501:                              ;   in Loop: Header=BB2_499 Depth=2
	s_or_b32 exec_lo, exec_lo, s13
	v_sub_nc_u32_e32 v2, v78, v114
	v_and_b32_e32 v8, 12, v30
	s_mov_b32 s14, exec_lo
	s_delay_alu instid0(VALU_DEP_2) | instskip(NEXT) | instid1(VALU_DEP_2)
	v_min_i32_e32 v112, v112, v2
	v_cmpx_ne_u32_e32 0, v8
	s_cbranch_execz .LBB2_527
; %bb.502:                              ;   in Loop: Header=BB2_499 Depth=2
	v_and_b32_e32 v2, 8, v30
	v_add_nc_u64_e32 v[8:9], 2, v[98:99]
	s_mov_b32 s15, exec_lo
	s_wait_loadcnt_dscnt 0x1
	s_delay_alu instid0(VALU_DEP_2) | instskip(NEXT) | instid1(VALU_DEP_1)
	v_add_nc_u64_e32 v[10:11], v[28:29], v[2:3]
	v_cmpx_lt_u64_e64 v[10:11], v[8:9]
	s_cbranch_execz .LBB2_514
; %bb.503:                              ;   in Loop: Header=BB2_499 Depth=2
	v_and_b32_e32 v10, 64, v30
	s_mov_b32 s16, 0
	s_mov_b32 s45, 0
                                        ; implicit-def: $sgpr17
                                        ; implicit-def: $sgpr20
                                        ; implicit-def: $sgpr44
	s_delay_alu instid0(VALU_DEP_1)
	v_cmp_eq_u32_e32 vcc_lo, 0, v10
	s_branch .LBB2_507
.LBB2_504:                              ;   in Loop: Header=BB2_507 Depth=3
	s_wait_loadcnt_dscnt 0x0
	v_add_nc_u64_e32 v[118:119], v[28:29], v[2:3]
	s_or_b32 s77, s77, exec_lo
	s_delay_alu instid0(VALU_DEP_1)
	v_cmp_ge_u64_e64 s13, v[118:119], v[8:9]
	s_or_not1_b32 s47, s13, exec_lo
.LBB2_505:                              ;   in Loop: Header=BB2_507 Depth=3
	s_or_b32 exec_lo, exec_lo, s79
	s_delay_alu instid0(SALU_CYCLE_1)
	s_and_not1_b32 s13, s44, exec_lo
	s_and_b32 s44, s77, exec_lo
	s_and_not1_b32 s20, s20, exec_lo
	s_and_b32 s47, s47, exec_lo
	s_or_b32 s44, s13, s44
	s_or_b32 s20, s20, s47
.LBB2_506:                              ;   in Loop: Header=BB2_507 Depth=3
	s_or_b32 exec_lo, exec_lo, s46
	s_delay_alu instid0(SALU_CYCLE_1) | instskip(NEXT) | instid1(SALU_CYCLE_1)
	s_and_b32 s13, exec_lo, s20
	s_or_b32 s16, s13, s16
	s_and_not1_b32 s13, s17, exec_lo
	s_and_b32 s17, s44, exec_lo
	s_delay_alu instid0(SALU_CYCLE_1)
	s_or_b32 s17, s13, s17
	s_and_not1_b32 exec_lo, exec_lo, s16
	s_cbranch_execz .LBB2_511
.LBB2_507:                              ;   Parent Loop BB2_47 Depth=1
                                        ;     Parent Loop BB2_499 Depth=2
                                        ; =>    This Inner Loop Header: Depth=3
	s_sleep 1
	s_wait_loadcnt_dscnt 0x0
	flat_load_b64 v[28:29], v[20:21] scope:SCOPE_SYS
	s_or_b32 s44, s44, exec_lo
	s_or_b32 s20, s20, exec_lo
                                        ; implicit-def: $vgpr10
	s_wait_xcnt 0x0
	s_and_saveexec_b32 s46, vcc_lo
	s_cbranch_execz .LBB2_506
; %bb.508:                              ;   in Loop: Header=BB2_507 Depth=3
	s_cmp_lt_i32 s45, 0x270f
	s_mov_b32 s47, -1
	s_cselect_b32 s78, -1, 0
	s_cmp_gt_i32 s45, 0x270e
	s_cbranch_scc0 .LBB2_510
; %bb.509:                              ;   in Loop: Header=BB2_507 Depth=3
	s_trap 2
	ds_load_b64 v[10:11], v11
	s_and_not1_b32 s45, s78, exec_lo
	s_mov_b32 s77, 0
	s_wait_storecnt 0x0
	s_wait_loadcnt_dscnt 0x0
	flat_load_b32 v10, v[10:11] scope:SCOPE_SYS
	s_wait_loadcnt_dscnt 0x0
	global_inv scope:SCOPE_SYS
	v_cmp_eq_u32_e64 s13, 0, v10
	s_and_b32 s13, s13, exec_lo
	s_delay_alu instid0(SALU_CYCLE_1)
	s_or_b32 s78, s45, s13
	s_mov_b32 s45, 0
	s_and_saveexec_b32 s79, s78
	s_cbranch_execz .LBB2_505
	s_branch .LBB2_504
.LBB2_510:                              ;   in Loop: Header=BB2_507 Depth=3
	s_add_co_i32 s45, s45, 1
	s_mov_b32 s77, -1
                                        ; implicit-def: $vgpr10
	s_and_saveexec_b32 s79, s78
	s_cbranch_execz .LBB2_505
	s_branch .LBB2_504
.LBB2_511:                              ;   in Loop: Header=BB2_499 Depth=2
	s_or_b32 exec_lo, exec_lo, s16
	s_xor_b32 s13, s17, -1
	s_delay_alu instid0(SALU_CYCLE_1) | instskip(NEXT) | instid1(SALU_CYCLE_1)
	s_and_saveexec_b32 s16, s13
	s_xor_b32 s13, exec_lo, s16
	s_cbranch_execz .LBB2_513
; %bb.512:                              ;   in Loop: Header=BB2_499 Depth=2
	v_or_b32_e32 v30, 64, v30
	s_wait_storecnt 0x0
	s_wait_loadcnt_dscnt 0x0
	ds_store_b32 v11, v10
	s_trap 2
.LBB2_513:                              ;   in Loop: Header=BB2_499 Depth=2
	s_or_b32 exec_lo, exec_lo, s13
.LBB2_514:                              ;   in Loop: Header=BB2_499 Depth=2
	s_delay_alu instid0(SALU_CYCLE_1) | instskip(SKIP_2) | instid1(VALU_DEP_1)
	s_or_b32 exec_lo, exec_lo, s15
	v_and_b32_e32 v10, 0x108, v30
	;;#ASMSTART
	s_wakeup
	;;#ASMEND
	v_cmp_ne_u32_e32 vcc_lo, 0x108, v10
	v_and_b32_e32 v10, 7, v98
	s_and_saveexec_b32 s13, vcc_lo
	s_delay_alu instid0(SALU_CYCLE_1)
	s_xor_b32 s13, exec_lo, s13
; %bb.515:                              ;   in Loop: Header=BB2_499 Depth=2
	v_mov_b32_e32 v11, v3
; %bb.516:                              ;   in Loop: Header=BB2_499 Depth=2
	s_and_not1_saveexec_b32 s13, s13
	s_cbranch_execz .LBB2_518
; %bb.517:                              ;   in Loop: Header=BB2_499 Depth=2
	v_dual_ashrrev_i32 v113, 31, v112 :: v_dual_mov_b32 v11, v3
	v_mad_nc_u64_u32 v[98:99], v10, 24, v[6:7]
	s_delay_alu instid0(VALU_DEP_2)
	v_lshlrev_b64_e32 v[118:119], 3, v[112:113]
	flat_store_b64 v[98:99], v[118:119] offset:8
.LBB2_518:                              ;   in Loop: Header=BB2_499 Depth=2
	s_wait_xcnt 0x0
	s_or_b32 exec_lo, exec_lo, s13
	v_and_b32_e32 v98, 0x100, v30
	s_mov_b32 s13, -1
	s_delay_alu instid0(VALU_DEP_1)
	v_cmp_ne_u32_e32 vcc_lo, 0, v98
                                        ; implicit-def: $vgpr98_vgpr99
	s_and_saveexec_b32 s15, vcc_lo
	s_cbranch_execz .LBB2_522
; %bb.519:                              ;   in Loop: Header=BB2_499 Depth=2
	v_mad_nc_u64_u32 v[118:119], v10, 24, v[6:7]
	s_delay_alu instid0(VALU_DEP_1)
	v_mad_u32 v119, v11, 24, v119
	flat_load_b32 v98, v[118:119]
	s_wait_loadcnt_dscnt 0x0
	v_cmp_eq_u32_e64 s13, 1, v98
	v_cmp_ne_u32_e32 vcc_lo, 1, v98
                                        ; implicit-def: $vgpr98_vgpr99
	s_wait_xcnt 0x0
	s_and_saveexec_b32 s16, s13
	s_cbranch_execz .LBB2_521
; %bb.520:                              ;   in Loop: Header=BB2_499 Depth=2
	flat_load_b32 v98, v[118:119] offset:4 scope:SCOPE_SYS
	s_wait_loadcnt_dscnt 0x0
	v_ashrrev_i32_e32 v99, 31, v98
	s_delay_alu instid0(VALU_DEP_1)
	v_lshrrev_b64 v[98:99], 3, v[98:99]
.LBB2_521:                              ;   in Loop: Header=BB2_499 Depth=2
	s_wait_xcnt 0x0
	s_or_b32 exec_lo, exec_lo, s16
	s_delay_alu instid0(SALU_CYCLE_1)
	s_or_not1_b32 s13, vcc_lo, exec_lo
.LBB2_522:                              ;   in Loop: Header=BB2_499 Depth=2
	s_or_b32 exec_lo, exec_lo, s15
	s_and_saveexec_b32 s15, s13
; %bb.523:                              ;   in Loop: Header=BB2_499 Depth=2
	v_mul_u64_e32 v[98:99], v[10:11], v[22:23]
; %bb.524:                              ;   in Loop: Header=BB2_499 Depth=2
	s_or_b32 exec_lo, exec_lo, s15
	v_cmp_eq_u32_e32 vcc_lo, 0, v2
	v_and_b32_e32 v113, 0x2000, v30
	s_delay_alu instid0(VALU_DEP_3) | instskip(SKIP_2) | instid1(VALU_DEP_1)
	v_lshl_add_u64 v[10:11], v[98:99], 3, v[24:25]
	s_mov_b32 s13, exec_lo
	v_cndmask_b32_e32 v2, 0xd0, v76, vcc_lo
	v_add_nc_u32_e32 v2, v0, v2
	ds_store_b64 v2, v[10:11] offset:584
	v_cmpx_ne_u32_e32 0, v113
	s_cbranch_execz .LBB2_526
; %bb.525:                              ;   in Loop: Header=BB2_499 Depth=2
	ds_load_b64 v[10:11], v0 offset:872
	s_wait_dscnt 0x0
	v_add_nc_u64_e32 v[10:11], 1, v[10:11]
	ds_store_b64 v0, v[10:11] offset:872
.LBB2_526:                              ;   in Loop: Header=BB2_499 Depth=2
	s_or_b32 exec_lo, exec_lo, s13
	v_mov_b64_e32 v[98:99], v[8:9]
.LBB2_527:                              ;   in Loop: Header=BB2_499 Depth=2
	s_or_b32 exec_lo, exec_lo, s14
	s_and_saveexec_b32 s13, s2
	s_cbranch_execz .LBB2_546
; %bb.528:                              ;   in Loop: Header=BB2_499 Depth=2
	s_and_saveexec_b32 s14, s3
	s_delay_alu instid0(SALU_CYCLE_1)
	s_xor_b32 s14, exec_lo, s14
	s_cbranch_execz .LBB2_543
; %bb.529:                              ;   in Loop: Header=BB2_499 Depth=2
	s_and_saveexec_b32 s15, s6
	s_cbranch_execz .LBB2_542
; %bb.530:                              ;   in Loop: Header=BB2_499 Depth=2
	s_mov_b32 s17, exec_lo
	s_mov_b32 s16, exec_lo
	v_mbcnt_lo_u32_b32 v2, s17, 0
	global_wb scope:SCOPE_DEV
	s_wait_storecnt 0x0
	s_wait_loadcnt_dscnt 0x0
	global_inv scope:SCOPE_DEV
	v_cmpx_eq_u32_e32 0, v2
	s_cbranch_execz .LBB2_532
; %bb.531:                              ;   in Loop: Header=BB2_499 Depth=2
	s_bcnt1_i32_b32 s17, s17
	s_delay_alu instid0(SALU_CYCLE_1)
	v_mov_b32_e32 v2, s17
	s_wait_loadcnt 0x0
	ds_add_u64 v2, v[2:3]
	s_trap 2
.LBB2_532:                              ;   in Loop: Header=BB2_499 Depth=2
	s_or_b32 exec_lo, exec_lo, s16
	s_trap 2
	ds_load_b64 v[8:9], v2
	s_wait_dscnt 0x0
	v_add_nc_u64_e32 v[12:13], v[12:13], v[32:33]
	s_mov_b32 s16, exec_lo
	s_delay_alu instid0(VALU_DEP_1)
	v_cmpx_lt_u64_e64 v[8:9], v[12:13]
	s_cbranch_execz .LBB2_541
; %bb.533:                              ;   in Loop: Header=BB2_499 Depth=2
	s_mov_b32 s17, 0
	s_mov_b32 s45, 0
                                        ; implicit-def: $sgpr20
                                        ; implicit-def: $sgpr44
	s_branch .LBB2_535
.LBB2_534:                              ;   in Loop: Header=BB2_535 Depth=3
	s_or_b32 exec_lo, exec_lo, s47
	s_delay_alu instid0(SALU_CYCLE_1) | instskip(NEXT) | instid1(SALU_CYCLE_1)
	s_and_b32 s46, exec_lo, s77
	s_or_b32 s17, s46, s17
	s_and_not1_b32 s20, s20, exec_lo
	s_and_b32 s46, s44, exec_lo
	s_delay_alu instid0(SALU_CYCLE_1)
	s_or_b32 s20, s20, s46
	s_and_not1_b32 exec_lo, exec_lo, s17
	s_cbranch_execz .LBB2_539
.LBB2_535:                              ;   Parent Loop BB2_47 Depth=1
                                        ;     Parent Loop BB2_499 Depth=2
                                        ; =>    This Inner Loop Header: Depth=3
	s_add_co_i32 s45, s45, 1
	s_delay_alu instid0(SALU_CYCLE_1) | instskip(SKIP_1) | instid1(SALU_CYCLE_1)
	s_cmp_lg_u32 s45, 0x2710
	s_cselect_b32 s46, -1, 0
	s_and_b32 vcc_lo, exec_lo, s46
	s_cbranch_vccz .LBB2_537
; %bb.536:                              ;   in Loop: Header=BB2_535 Depth=3
	s_mov_b32 s77, -1
	s_or_b32 s44, s44, exec_lo
	s_and_saveexec_b32 s47, s46
	s_cbranch_execz .LBB2_534
	s_branch .LBB2_538
.LBB2_537:                              ;   in Loop: Header=BB2_535 Depth=3
	s_trap 2
	ds_load_b64 v[8:9], v2
	s_and_not1_b32 s46, s46, exec_lo
	s_mov_b32 s45, 0
	s_wait_loadcnt_dscnt 0x0
	flat_load_b32 v2, v[8:9] scope:SCOPE_SYS
	s_wait_loadcnt_dscnt 0x0
	global_inv scope:SCOPE_SYS
	v_cmp_eq_u32_e32 vcc_lo, 0, v2
	s_and_b32 s47, vcc_lo, exec_lo
	s_delay_alu instid0(SALU_CYCLE_1)
	s_or_b32 s46, s46, s47
	s_mov_b32 s77, -1
	s_or_b32 s44, s44, exec_lo
	s_and_saveexec_b32 s47, s46
	s_cbranch_execz .LBB2_534
.LBB2_538:                              ;   in Loop: Header=BB2_535 Depth=3
	s_sleep 1
	s_trap 2
	ds_load_b64 v[8:9], v2
	s_wait_dscnt 0x0
	s_and_not1_b32 s44, s44, exec_lo
	v_cmp_ge_u64_e32 vcc_lo, v[8:9], v[12:13]
	s_or_not1_b32 s77, vcc_lo, exec_lo
	s_branch .LBB2_534
.LBB2_539:                              ;   in Loop: Header=BB2_499 Depth=2
	s_or_b32 exec_lo, exec_lo, s17
	s_and_saveexec_b32 s17, s20
	s_delay_alu instid0(SALU_CYCLE_1)
	s_xor_b32 s17, exec_lo, s17
	s_cbranch_execz .LBB2_541
; %bb.540:                              ;   in Loop: Header=BB2_499 Depth=2
	ds_store_b32 v2, v75
	s_trap 2
.LBB2_541:                              ;   in Loop: Header=BB2_499 Depth=2
	s_or_b32 exec_lo, exec_lo, s16
	;;#ASMSTART
	s_wakeup
	;;#ASMEND
.LBB2_542:                              ;   in Loop: Header=BB2_499 Depth=2
	s_or_b32 exec_lo, exec_lo, s15
.LBB2_543:                              ;   in Loop: Header=BB2_499 Depth=2
	s_and_not1_saveexec_b32 s14, s14
	s_cbranch_execz .LBB2_545
; %bb.544:                              ;   in Loop: Header=BB2_499 Depth=2
	global_wb scope:SCOPE_DEV
	s_wait_storecnt 0x0
	s_wait_loadcnt_dscnt 0x0
	global_inv scope:SCOPE_DEV
	s_barrier_signal -1
	s_barrier_wait -1
.LBB2_545:                              ;   in Loop: Header=BB2_499 Depth=2
	s_or_b32 exec_lo, exec_lo, s14
.LBB2_546:                              ;   in Loop: Header=BB2_499 Depth=2
	s_delay_alu instid0(SALU_CYCLE_1) | instskip(SKIP_4) | instid1(VALU_DEP_1)
	s_or_b32 exec_lo, exec_lo, s13
	s_trap 2
	ds_load_b32 v8, v2
	v_and_b32_e32 v2, 0x4000, v30
	s_xor_b32 s13, s1, -1
	v_cmp_ne_u32_e32 vcc_lo, 0, v2
	s_and_b32 s14, s13, vcc_lo
	s_delay_alu instid0(SALU_CYCLE_1)
	s_and_saveexec_b32 s13, s14
	s_cbranch_execz .LBB2_565
; %bb.547:                              ;   in Loop: Header=BB2_499 Depth=2
	s_and_saveexec_b32 s14, s3
	s_delay_alu instid0(SALU_CYCLE_1)
	s_xor_b32 s14, exec_lo, s14
	s_cbranch_execz .LBB2_562
; %bb.548:                              ;   in Loop: Header=BB2_499 Depth=2
	s_and_saveexec_b32 s15, s6
	s_cbranch_execz .LBB2_561
; %bb.549:                              ;   in Loop: Header=BB2_499 Depth=2
	s_mov_b32 s17, exec_lo
	s_mov_b32 s16, exec_lo
	v_mbcnt_lo_u32_b32 v2, s17, 0
	global_wb scope:SCOPE_DEV
	s_wait_storecnt 0x0
	s_wait_loadcnt_dscnt 0x0
	global_inv scope:SCOPE_DEV
	v_cmpx_eq_u32_e32 0, v2
	s_cbranch_execz .LBB2_551
; %bb.550:                              ;   in Loop: Header=BB2_499 Depth=2
	s_bcnt1_i32_b32 s17, s17
	s_delay_alu instid0(SALU_CYCLE_1)
	v_mov_b32_e32 v2, s17
	s_wait_loadcnt 0x0
	ds_add_u64 v2, v[2:3]
	s_trap 2
.LBB2_551:                              ;   in Loop: Header=BB2_499 Depth=2
	s_or_b32 exec_lo, exec_lo, s16
	s_trap 2
	ds_load_b64 v[10:11], v2
	s_wait_dscnt 0x0
	v_add_nc_u64_e32 v[12:13], v[12:13], v[32:33]
	s_mov_b32 s16, exec_lo
	s_delay_alu instid0(VALU_DEP_1)
	v_cmpx_lt_u64_e64 v[10:11], v[12:13]
	s_cbranch_execz .LBB2_560
; %bb.552:                              ;   in Loop: Header=BB2_499 Depth=2
	s_mov_b32 s17, 0
	s_mov_b32 s45, 0
                                        ; implicit-def: $sgpr20
                                        ; implicit-def: $sgpr44
	s_branch .LBB2_554
.LBB2_553:                              ;   in Loop: Header=BB2_554 Depth=3
	s_or_b32 exec_lo, exec_lo, s47
	s_delay_alu instid0(SALU_CYCLE_1) | instskip(NEXT) | instid1(SALU_CYCLE_1)
	s_and_b32 s46, exec_lo, s77
	s_or_b32 s17, s46, s17
	s_and_not1_b32 s20, s20, exec_lo
	s_and_b32 s46, s44, exec_lo
	s_delay_alu instid0(SALU_CYCLE_1)
	s_or_b32 s20, s20, s46
	s_and_not1_b32 exec_lo, exec_lo, s17
	s_cbranch_execz .LBB2_558
.LBB2_554:                              ;   Parent Loop BB2_47 Depth=1
                                        ;     Parent Loop BB2_499 Depth=2
                                        ; =>    This Inner Loop Header: Depth=3
	s_add_co_i32 s45, s45, 1
	s_delay_alu instid0(SALU_CYCLE_1) | instskip(SKIP_1) | instid1(SALU_CYCLE_1)
	s_cmp_lg_u32 s45, 0x2710
	s_cselect_b32 s46, -1, 0
	s_and_b32 vcc_lo, exec_lo, s46
	s_cbranch_vccz .LBB2_556
; %bb.555:                              ;   in Loop: Header=BB2_554 Depth=3
	s_mov_b32 s77, -1
	s_or_b32 s44, s44, exec_lo
	s_and_saveexec_b32 s47, s46
	s_cbranch_execz .LBB2_553
	s_branch .LBB2_557
.LBB2_556:                              ;   in Loop: Header=BB2_554 Depth=3
	s_trap 2
	ds_load_b64 v[10:11], v2
	s_and_not1_b32 s46, s46, exec_lo
	s_mov_b32 s45, 0
	s_wait_loadcnt_dscnt 0x0
	flat_load_b32 v2, v[10:11] scope:SCOPE_SYS
	s_wait_loadcnt_dscnt 0x0
	global_inv scope:SCOPE_SYS
	v_cmp_eq_u32_e32 vcc_lo, 0, v2
	s_and_b32 s47, vcc_lo, exec_lo
	s_delay_alu instid0(SALU_CYCLE_1)
	s_or_b32 s46, s46, s47
	s_mov_b32 s77, -1
	s_or_b32 s44, s44, exec_lo
	s_and_saveexec_b32 s47, s46
	s_cbranch_execz .LBB2_553
.LBB2_557:                              ;   in Loop: Header=BB2_554 Depth=3
	s_sleep 1
	s_trap 2
	ds_load_b64 v[10:11], v2
	s_wait_dscnt 0x0
	s_and_not1_b32 s44, s44, exec_lo
	v_cmp_ge_u64_e32 vcc_lo, v[10:11], v[12:13]
	s_or_not1_b32 s77, vcc_lo, exec_lo
	s_branch .LBB2_553
.LBB2_558:                              ;   in Loop: Header=BB2_499 Depth=2
	s_or_b32 exec_lo, exec_lo, s17
	s_and_saveexec_b32 s17, s20
	s_delay_alu instid0(SALU_CYCLE_1)
	s_xor_b32 s17, exec_lo, s17
	s_cbranch_execz .LBB2_560
; %bb.559:                              ;   in Loop: Header=BB2_499 Depth=2
	ds_store_b32 v2, v75
	s_trap 2
.LBB2_560:                              ;   in Loop: Header=BB2_499 Depth=2
	s_or_b32 exec_lo, exec_lo, s16
	;;#ASMSTART
	s_wakeup
	;;#ASMEND
.LBB2_561:                              ;   in Loop: Header=BB2_499 Depth=2
	s_or_b32 exec_lo, exec_lo, s15
.LBB2_562:                              ;   in Loop: Header=BB2_499 Depth=2
	s_and_not1_saveexec_b32 s14, s14
	s_cbranch_execz .LBB2_564
; %bb.563:                              ;   in Loop: Header=BB2_499 Depth=2
	global_wb scope:SCOPE_DEV
	s_wait_storecnt 0x0
	s_wait_loadcnt_dscnt 0x0
	global_inv scope:SCOPE_DEV
	s_barrier_signal -1
	s_barrier_wait -1
.LBB2_564:                              ;   in Loop: Header=BB2_499 Depth=2
	s_or_b32 exec_lo, exec_lo, s14
.LBB2_565:                              ;   in Loop: Header=BB2_499 Depth=2
	s_delay_alu instid0(SALU_CYCLE_1)
	s_or_b32 exec_lo, exec_lo, s13
	s_trap 2
	ds_load_b64 v[118:119], v2
	s_wait_dscnt 0x0
	v_cmp_eq_u64_e32 vcc_lo, 0, v[118:119]
	s_cbranch_vccnz .LBB2_577
; %bb.566:                              ;   in Loop: Header=BB2_499 Depth=2
	s_trap 2
	ds_load_b64 v[40:41], v2
	s_wait_dscnt 0x0
	v_cmp_eq_u64_e32 vcc_lo, 0, v[40:41]
	s_cbranch_vccnz .LBB2_577
; %bb.567:                              ;   in Loop: Header=BB2_499 Depth=2
	s_trap 2
	ds_load_b64 v[42:43], v2
	v_cmp_eq_u32_e32 vcc_lo, 0, v8
	s_mov_b32 s13, -1
	v_cndmask_b32_e32 v113, 0, v112, vcc_lo
	s_delay_alu instid0(VALU_DEP_1)
	v_lshlrev_b32_e32 v115, 3, v113
	s_wait_dscnt 0x0
	v_cmp_ne_u64_e32 vcc_lo, 0, v[42:43]
	s_cbranch_vccz .LBB2_631
; %bb.568:                              ;   in Loop: Header=BB2_499 Depth=2
	s_and_saveexec_b32 s14, s11
	s_cbranch_execz .LBB2_570
; %bb.569:                              ;   in Loop: Header=BB2_499 Depth=2
	ds_load_b32 v2, v0 offset:720
	s_wait_dscnt 0x0
	v_and_b32_e32 v2, 15, v2
	s_delay_alu instid0(VALU_DEP_1)
	v_cmp_eq_u32_e32 vcc_lo, 0, v2
	s_or_not1_b32 s13, vcc_lo, exec_lo
.LBB2_570:                              ;   in Loop: Header=BB2_499 Depth=2
	s_or_b32 exec_lo, exec_lo, s14
	s_and_saveexec_b32 s14, s11
	s_cbranch_execz .LBB2_572
; %bb.571:                              ;   in Loop: Header=BB2_499 Depth=2
	ds_load_b32 v2, v0 offset:784
	s_wait_dscnt 0x0
	v_and_b32_e32 v2, 15, v2
	s_delay_alu instid0(VALU_DEP_1) | instskip(SKIP_3) | instid1(SALU_CYCLE_1)
	v_cmp_eq_u32_e32 vcc_lo, 0, v2
	s_and_b32 s15, s13, vcc_lo
	s_and_not1_b32 s13, s13, exec_lo
	s_and_b32 s15, s15, exec_lo
	s_or_b32 s13, s13, s15
.LBB2_572:                              ;   in Loop: Header=BB2_499 Depth=2
	s_or_b32 exec_lo, exec_lo, s14
	s_xor_b32 s13, s13, -1
	s_delay_alu instid0(SALU_CYCLE_1) | instskip(SKIP_1) | instid1(VALU_DEP_1)
	v_cndmask_b32_e64 v2, 0, 1, s13
	s_mov_b32 s13, -1
	v_cmp_ne_u32_e32 vcc_lo, 0, v2
	s_cbranch_vccz .LBB2_582
; %bb.573:                              ;   in Loop: Header=BB2_499 Depth=2
	v_alignbit_b32 v63, v42, v42, 1
	s_mov_b32 s46, -1
	s_delay_alu instid0(VALU_DEP_1) | instskip(SKIP_1) | instid1(SALU_CYCLE_1)
	v_readfirstlane_b32 s13, v63
	s_and_b32 s20, s13, 0x7fffffff
	s_mov_b64 s[44:45], s[20:21]
	v_mov_b32_e32 v62, 0
	s_cbranch_execnz .LBB2_583
.LBB2_574:                              ;   in Loop: Header=BB2_499 Depth=2
	v_alignbit_b32 v2, v42, v42, 1
	v_mov_b64_e32 v[44:45], -1
	s_delay_alu instid0(VALU_DEP_2) | instskip(SKIP_1) | instid1(SALU_CYCLE_1)
	v_readfirstlane_b32 s44, v2
	s_and_b32 s20, s44, 0x7fffffff
	s_cmp_lt_i32 s20, 1
	s_cbranch_scc1 .LBB2_586
; %bb.575:                              ;   in Loop: Header=BB2_499 Depth=2
	s_cmp_lg_u32 s20, 1
	s_cbranch_scc1 .LBB2_584
; %bb.576:                              ;   in Loop: Header=BB2_499 Depth=2
	s_mov_b64 s[16:17], 0x8000000000000000
	s_mov_b64 s[14:15], 1
	s_branch .LBB2_585
.LBB2_577:                              ;   in Loop: Header=BB2_499 Depth=2
	s_mov_b32 s13, 0
	s_and_saveexec_b32 s14, s2
	s_cbranch_execnz .LBB2_683
.LBB2_578:                              ;   in Loop: Header=BB2_499 Depth=2
	s_or_b32 exec_lo, exec_lo, s14
                                        ; implicit-def: $vgpr2
	s_and_saveexec_b32 s14, s12
	s_delay_alu instid0(SALU_CYCLE_1)
	s_xor_b32 s14, exec_lo, s14
	s_cbranch_execz .LBB2_701
.LBB2_579:                              ;   in Loop: Header=BB2_499 Depth=2
	v_and_b32_e32 v2, 16, v30
	s_delay_alu instid0(VALU_DEP_1) | instskip(SKIP_2) | instid1(SALU_CYCLE_1)
	v_cmp_ne_u32_e32 vcc_lo, 0, v2
	v_and_b32_e32 v2, 16, v30
	s_and_b32 s15, vcc_lo, s13
	s_and_saveexec_b32 s13, s15
	s_cbranch_execz .LBB2_581
; %bb.580:                              ;   in Loop: Header=BB2_499 Depth=2
	v_mov_b32_e32 v2, 1
	global_wb scope:SCOPE_SYS
	s_wait_storecnt 0x0
	s_wait_loadcnt_dscnt 0x0
	global_inv scope:SCOPE_SYS
.LBB2_581:                              ;   in Loop: Header=BB2_499 Depth=2
	s_or_b32 exec_lo, exec_lo, s13
	s_and_not1_saveexec_b32 s13, s14
	s_cbranch_execz .LBB2_720
	s_branch .LBB2_702
.LBB2_582:                              ;   in Loop: Header=BB2_499 Depth=2
	s_mov_b32 s46, 0
                                        ; implicit-def: $vgpr63
                                        ; implicit-def: $sgpr44_sgpr45
	v_mov_b32_e32 v62, 0
	s_and_not1_b32 vcc_lo, exec_lo, s13
	s_cbranch_vccz .LBB2_574
.LBB2_583:                              ;   in Loop: Header=BB2_499 Depth=2
	v_dual_mov_b32 v88, v115 :: v_dual_mov_b32 v2, v0
	v_mov_b32_e32 v79, v73
	s_and_saveexec_b32 s77, s46
	s_cbranch_execnz .LBB2_608
	s_branch .LBB2_630
.LBB2_584:                              ;   in Loop: Header=BB2_499 Depth=2
	s_mov_b64 s[14:15], 3
	s_mov_b64 s[16:17], 0
.LBB2_585:                              ;   in Loop: Header=BB2_499 Depth=2
	v_cmp_lt_u64_e64 s13, s[14:15], s[20:21]
	s_or_b64 s[78:79], s[16:17], 2.0
	s_mov_b32 s15, s21
	s_and_b32 s13, s13, exec_lo
	s_cselect_b32 s13, 0, s20
	s_cselect_b32 s17, s17, s79
	s_cselect_b32 s16, s16, s78
	s_sub_co_i32 s13, s14, s13
	s_or_b64 s[78:79], s[16:17], 0x2000000000000000
	s_lshl_b32 s13, s13, 1
	s_delay_alu instid0(SALU_CYCLE_1) | instskip(NEXT) | instid1(SALU_CYCLE_1)
	s_or_b32 s14, s13, 1
	v_cmp_lt_u64_e64 s13, s[14:15], s[20:21]
	s_and_b32 s13, s13, exec_lo
	s_cselect_b32 s17, s17, s79
	s_cselect_b32 s16, s16, s78
	s_sub_nc_u64 s[78:79], s[14:15], s[20:21]
	s_delay_alu instid0(SALU_CYCLE_1) | instskip(SKIP_1) | instid1(VALU_DEP_1)
	v_min_u64 v[8:9], s[14:15], s[78:79]
	s_or_b64 s[14:15], s[16:17], 0x1000000000000000
	v_lshlrev_b64_e32 v[8:9], 1, v[8:9]
	s_delay_alu instid0(VALU_DEP_1) | instskip(NEXT) | instid1(VALU_DEP_1)
	v_or_b32_e32 v8, 1, v8
	v_sub_nc_u64_e64 v[10:11], v[8:9], s[20:21]
	v_cmp_gt_u64_e32 vcc_lo, s[20:21], v[8:9]
	s_delay_alu instid0(VALU_DEP_2) | instskip(SKIP_3) | instid1(SALU_CYCLE_1)
	v_min_u64 v[8:9], v[8:9], v[10:11]
	s_and_b32 s13, vcc_lo, exec_lo
	s_cselect_b32 s15, s17, s15
	s_cselect_b32 s14, s16, s14
	s_or_b64 s[16:17], s[14:15], 0x800000000000000
	s_delay_alu instid0(VALU_DEP_1) | instskip(NEXT) | instid1(VALU_DEP_1)
	v_lshlrev_b64_e32 v[8:9], 1, v[8:9]
	v_or_b32_e32 v8, 1, v8
	s_delay_alu instid0(VALU_DEP_1) | instskip(SKIP_1) | instid1(VALU_DEP_2)
	v_sub_nc_u64_e64 v[10:11], v[8:9], s[20:21]
	v_cmp_gt_u64_e32 vcc_lo, s[20:21], v[8:9]
	v_min_u64 v[8:9], v[8:9], v[10:11]
	s_and_b32 s13, vcc_lo, exec_lo
	s_cselect_b32 s15, s15, s17
	s_cselect_b32 s14, s14, s16
	s_delay_alu instid0(SALU_CYCLE_1) | instskip(NEXT) | instid1(VALU_DEP_1)
	s_or_b64 s[16:17], s[14:15], 0x400000000000000
	v_lshlrev_b64_e32 v[8:9], 1, v[8:9]
	s_delay_alu instid0(VALU_DEP_1) | instskip(NEXT) | instid1(VALU_DEP_1)
	v_or_b32_e32 v8, 1, v8
	v_sub_nc_u64_e64 v[10:11], v[8:9], s[20:21]
	v_cmp_gt_u64_e32 vcc_lo, s[20:21], v[8:9]
	s_delay_alu instid0(VALU_DEP_2) | instskip(SKIP_3) | instid1(SALU_CYCLE_1)
	v_min_u64 v[8:9], v[8:9], v[10:11]
	s_and_b32 s13, vcc_lo, exec_lo
	s_cselect_b32 s15, s15, s17
	s_cselect_b32 s14, s14, s16
	s_or_b64 s[16:17], s[14:15], 0x200000000000000
	s_delay_alu instid0(VALU_DEP_1) | instskip(NEXT) | instid1(VALU_DEP_1)
	v_lshlrev_b64_e32 v[8:9], 1, v[8:9]
	v_or_b32_e32 v8, 1, v8
	s_delay_alu instid0(VALU_DEP_1) | instskip(SKIP_1) | instid1(VALU_DEP_2)
	v_sub_nc_u64_e64 v[10:11], v[8:9], s[20:21]
	v_cmp_gt_u64_e32 vcc_lo, s[20:21], v[8:9]
	v_min_u64 v[8:9], v[8:9], v[10:11]
	s_and_b32 s13, vcc_lo, exec_lo
	s_cselect_b32 s15, s15, s17
	s_cselect_b32 s14, s14, s16
	s_delay_alu instid0(SALU_CYCLE_1) | instskip(NEXT) | instid1(VALU_DEP_1)
	s_or_b64 s[16:17], s[14:15], 0x100000000000000
	v_lshlrev_b64_e32 v[8:9], 1, v[8:9]
	s_delay_alu instid0(VALU_DEP_1) | instskip(NEXT) | instid1(VALU_DEP_1)
	v_or_b32_e32 v8, 1, v8
	v_sub_nc_u64_e64 v[10:11], v[8:9], s[20:21]
	v_cmp_gt_u64_e32 vcc_lo, s[20:21], v[8:9]
	s_delay_alu instid0(VALU_DEP_2) | instskip(SKIP_3) | instid1(SALU_CYCLE_1)
	v_min_u64 v[8:9], v[8:9], v[10:11]
	s_and_b32 s13, vcc_lo, exec_lo
	s_cselect_b32 s15, s15, s17
	s_cselect_b32 s14, s14, s16
	s_or_b64 s[16:17], s[14:15], 0x80000000000000
	s_delay_alu instid0(VALU_DEP_1) | instskip(NEXT) | instid1(VALU_DEP_1)
	v_lshlrev_b64_e32 v[8:9], 1, v[8:9]
	v_or_b32_e32 v8, 1, v8
	s_delay_alu instid0(VALU_DEP_1) | instskip(SKIP_1) | instid1(VALU_DEP_2)
	v_sub_nc_u64_e64 v[10:11], v[8:9], s[20:21]
	v_cmp_gt_u64_e32 vcc_lo, s[20:21], v[8:9]
	v_min_u64 v[8:9], v[8:9], v[10:11]
	s_and_b32 s13, vcc_lo, exec_lo
	s_cselect_b32 s15, s15, s17
	s_cselect_b32 s14, s14, s16
	s_delay_alu instid0(SALU_CYCLE_1) | instskip(NEXT) | instid1(VALU_DEP_1)
	s_or_b64 s[16:17], s[14:15], 0x40000000000000
	v_lshlrev_b64_e32 v[8:9], 1, v[8:9]
	s_delay_alu instid0(VALU_DEP_1) | instskip(NEXT) | instid1(VALU_DEP_1)
	v_or_b32_e32 v8, 1, v8
	v_sub_nc_u64_e64 v[10:11], v[8:9], s[20:21]
	v_cmp_gt_u64_e32 vcc_lo, s[20:21], v[8:9]
	s_delay_alu instid0(VALU_DEP_2) | instskip(SKIP_3) | instid1(SALU_CYCLE_1)
	v_min_u64 v[8:9], v[8:9], v[10:11]
	s_and_b32 s13, vcc_lo, exec_lo
	s_cselect_b32 s15, s15, s17
	s_cselect_b32 s14, s14, s16
	s_or_b64 s[16:17], s[14:15], 0x20000000000000
	s_delay_alu instid0(VALU_DEP_1) | instskip(NEXT) | instid1(VALU_DEP_1)
	v_lshlrev_b64_e32 v[8:9], 1, v[8:9]
	v_or_b32_e32 v8, 1, v8
	s_delay_alu instid0(VALU_DEP_1) | instskip(SKIP_1) | instid1(VALU_DEP_2)
	v_sub_nc_u64_e64 v[10:11], v[8:9], s[20:21]
	v_cmp_gt_u64_e32 vcc_lo, s[20:21], v[8:9]
	v_min_u64 v[8:9], v[8:9], v[10:11]
	s_and_b32 s13, vcc_lo, exec_lo
	s_cselect_b32 s15, s15, s17
	s_cselect_b32 s14, s14, s16
	s_delay_alu instid0(SALU_CYCLE_1) | instskip(NEXT) | instid1(VALU_DEP_1)
	s_or_b64 s[16:17], s[14:15], 0x10000000000000
	v_lshlrev_b64_e32 v[8:9], 1, v[8:9]
	s_delay_alu instid0(VALU_DEP_1) | instskip(NEXT) | instid1(VALU_DEP_1)
	v_or_b32_e32 v8, 1, v8
	v_sub_nc_u64_e64 v[10:11], v[8:9], s[20:21]
	v_cmp_gt_u64_e32 vcc_lo, s[20:21], v[8:9]
	s_delay_alu instid0(VALU_DEP_2) | instskip(SKIP_3) | instid1(SALU_CYCLE_1)
	v_min_u64 v[8:9], v[8:9], v[10:11]
	s_and_b32 s13, vcc_lo, exec_lo
	s_cselect_b32 s15, s15, s17
	s_cselect_b32 s14, s14, s16
	s_or_b64 s[16:17], s[14:15], 0x8000000000000
	s_delay_alu instid0(VALU_DEP_1) | instskip(NEXT) | instid1(VALU_DEP_1)
	v_lshlrev_b64_e32 v[8:9], 1, v[8:9]
	v_or_b32_e32 v8, 1, v8
	s_delay_alu instid0(VALU_DEP_1) | instskip(SKIP_1) | instid1(VALU_DEP_2)
	v_sub_nc_u64_e64 v[10:11], v[8:9], s[20:21]
	v_cmp_gt_u64_e32 vcc_lo, s[20:21], v[8:9]
	v_min_u64 v[8:9], v[8:9], v[10:11]
	s_and_b32 s13, vcc_lo, exec_lo
	s_cselect_b32 s15, s15, s17
	s_cselect_b32 s14, s14, s16
	s_delay_alu instid0(SALU_CYCLE_1) | instskip(NEXT) | instid1(VALU_DEP_1)
	s_or_b64 s[16:17], s[14:15], 0x4000000000000
	v_lshlrev_b64_e32 v[8:9], 1, v[8:9]
	s_delay_alu instid0(VALU_DEP_1) | instskip(NEXT) | instid1(VALU_DEP_1)
	v_or_b32_e32 v8, 1, v8
	v_sub_nc_u64_e64 v[10:11], v[8:9], s[20:21]
	v_cmp_gt_u64_e32 vcc_lo, s[20:21], v[8:9]
	s_delay_alu instid0(VALU_DEP_2) | instskip(SKIP_3) | instid1(SALU_CYCLE_1)
	v_min_u64 v[8:9], v[8:9], v[10:11]
	s_and_b32 s13, vcc_lo, exec_lo
	s_cselect_b32 s15, s15, s17
	s_cselect_b32 s14, s14, s16
	s_or_b64 s[16:17], s[14:15], 0x2000000000000
	s_delay_alu instid0(VALU_DEP_1) | instskip(NEXT) | instid1(VALU_DEP_1)
	v_lshlrev_b64_e32 v[8:9], 1, v[8:9]
	v_or_b32_e32 v8, 1, v8
	s_delay_alu instid0(VALU_DEP_1) | instskip(SKIP_1) | instid1(VALU_DEP_2)
	v_sub_nc_u64_e64 v[10:11], v[8:9], s[20:21]
	v_cmp_gt_u64_e32 vcc_lo, s[20:21], v[8:9]
	v_min_u64 v[8:9], v[8:9], v[10:11]
	s_and_b32 s13, vcc_lo, exec_lo
	s_cselect_b32 s15, s15, s17
	s_cselect_b32 s14, s14, s16
	s_delay_alu instid0(SALU_CYCLE_1) | instskip(NEXT) | instid1(VALU_DEP_1)
	s_or_b64 s[16:17], s[14:15], 0x1000000000000
	v_lshlrev_b64_e32 v[8:9], 1, v[8:9]
	s_delay_alu instid0(VALU_DEP_1) | instskip(NEXT) | instid1(VALU_DEP_1)
	v_or_b32_e32 v8, 1, v8
	v_sub_nc_u64_e64 v[10:11], v[8:9], s[20:21]
	v_cmp_gt_u64_e32 vcc_lo, s[20:21], v[8:9]
	s_delay_alu instid0(VALU_DEP_2) | instskip(SKIP_3) | instid1(SALU_CYCLE_1)
	v_min_u64 v[8:9], v[8:9], v[10:11]
	s_and_b32 s13, vcc_lo, exec_lo
	s_cselect_b32 s15, s15, s17
	s_cselect_b32 s14, s14, s16
	s_or_b64 s[16:17], s[14:15], 0x800000000000
	s_delay_alu instid0(VALU_DEP_1) | instskip(NEXT) | instid1(VALU_DEP_1)
	v_lshlrev_b64_e32 v[8:9], 1, v[8:9]
	v_or_b32_e32 v8, 1, v8
	s_delay_alu instid0(VALU_DEP_1) | instskip(SKIP_1) | instid1(VALU_DEP_2)
	v_sub_nc_u64_e64 v[10:11], v[8:9], s[20:21]
	v_cmp_gt_u64_e32 vcc_lo, s[20:21], v[8:9]
	v_min_u64 v[8:9], v[8:9], v[10:11]
	s_and_b32 s13, vcc_lo, exec_lo
	s_cselect_b32 s15, s15, s17
	s_cselect_b32 s14, s14, s16
	s_delay_alu instid0(SALU_CYCLE_1) | instskip(NEXT) | instid1(VALU_DEP_1)
	s_or_b64 s[16:17], s[14:15], 0x400000000000
	v_lshlrev_b64_e32 v[8:9], 1, v[8:9]
	s_delay_alu instid0(VALU_DEP_1) | instskip(NEXT) | instid1(VALU_DEP_1)
	v_or_b32_e32 v8, 1, v8
	v_sub_nc_u64_e64 v[10:11], v[8:9], s[20:21]
	v_cmp_gt_u64_e32 vcc_lo, s[20:21], v[8:9]
	s_delay_alu instid0(VALU_DEP_2) | instskip(SKIP_3) | instid1(SALU_CYCLE_1)
	v_min_u64 v[8:9], v[8:9], v[10:11]
	s_and_b32 s13, vcc_lo, exec_lo
	s_cselect_b32 s15, s15, s17
	s_cselect_b32 s14, s14, s16
	s_or_b64 s[16:17], s[14:15], 0x200000000000
	s_delay_alu instid0(VALU_DEP_1) | instskip(NEXT) | instid1(VALU_DEP_1)
	v_lshlrev_b64_e32 v[8:9], 1, v[8:9]
	v_or_b32_e32 v8, 1, v8
	s_delay_alu instid0(VALU_DEP_1) | instskip(SKIP_1) | instid1(VALU_DEP_2)
	v_sub_nc_u64_e64 v[10:11], v[8:9], s[20:21]
	v_cmp_gt_u64_e32 vcc_lo, s[20:21], v[8:9]
	v_min_u64 v[8:9], v[8:9], v[10:11]
	s_and_b32 s13, vcc_lo, exec_lo
	s_cselect_b32 s15, s15, s17
	s_cselect_b32 s14, s14, s16
	s_delay_alu instid0(SALU_CYCLE_1) | instskip(NEXT) | instid1(VALU_DEP_1)
	s_or_b64 s[16:17], s[14:15], 0x100000000000
	v_lshlrev_b64_e32 v[8:9], 1, v[8:9]
	s_delay_alu instid0(VALU_DEP_1) | instskip(NEXT) | instid1(VALU_DEP_1)
	v_or_b32_e32 v8, 1, v8
	v_sub_nc_u64_e64 v[10:11], v[8:9], s[20:21]
	v_cmp_gt_u64_e32 vcc_lo, s[20:21], v[8:9]
	s_delay_alu instid0(VALU_DEP_2) | instskip(SKIP_3) | instid1(SALU_CYCLE_1)
	v_min_u64 v[8:9], v[8:9], v[10:11]
	s_and_b32 s13, vcc_lo, exec_lo
	s_cselect_b32 s15, s15, s17
	s_cselect_b32 s14, s14, s16
	s_or_b64 s[16:17], s[14:15], 0x80000000000
	s_delay_alu instid0(VALU_DEP_1) | instskip(NEXT) | instid1(VALU_DEP_1)
	v_lshlrev_b64_e32 v[8:9], 1, v[8:9]
	v_or_b32_e32 v8, 1, v8
	s_delay_alu instid0(VALU_DEP_1) | instskip(SKIP_1) | instid1(VALU_DEP_2)
	v_sub_nc_u64_e64 v[10:11], v[8:9], s[20:21]
	v_cmp_gt_u64_e32 vcc_lo, s[20:21], v[8:9]
	v_min_u64 v[8:9], v[8:9], v[10:11]
	s_and_b32 s13, vcc_lo, exec_lo
	s_cselect_b32 s15, s15, s17
	s_cselect_b32 s14, s14, s16
	s_delay_alu instid0(SALU_CYCLE_1) | instskip(NEXT) | instid1(VALU_DEP_1)
	s_or_b64 s[16:17], s[14:15], 0x40000000000
	v_lshlrev_b64_e32 v[8:9], 1, v[8:9]
	s_delay_alu instid0(VALU_DEP_1) | instskip(NEXT) | instid1(VALU_DEP_1)
	v_or_b32_e32 v8, 1, v8
	v_sub_nc_u64_e64 v[10:11], v[8:9], s[20:21]
	v_cmp_gt_u64_e32 vcc_lo, s[20:21], v[8:9]
	s_delay_alu instid0(VALU_DEP_2) | instskip(SKIP_3) | instid1(SALU_CYCLE_1)
	v_min_u64 v[8:9], v[8:9], v[10:11]
	s_and_b32 s13, vcc_lo, exec_lo
	s_cselect_b32 s15, s15, s17
	s_cselect_b32 s14, s14, s16
	s_or_b64 s[16:17], s[14:15], 0x20000000000
	s_delay_alu instid0(VALU_DEP_1) | instskip(NEXT) | instid1(VALU_DEP_1)
	v_lshlrev_b64_e32 v[8:9], 1, v[8:9]
	v_or_b32_e32 v8, 1, v8
	s_delay_alu instid0(VALU_DEP_1) | instskip(SKIP_1) | instid1(VALU_DEP_2)
	v_sub_nc_u64_e64 v[10:11], v[8:9], s[20:21]
	v_cmp_gt_u64_e32 vcc_lo, s[20:21], v[8:9]
	v_min_u64 v[8:9], v[8:9], v[10:11]
	s_and_b32 s13, vcc_lo, exec_lo
	s_cselect_b32 s15, s15, s17
	s_cselect_b32 s14, s14, s16
	s_delay_alu instid0(SALU_CYCLE_1) | instskip(NEXT) | instid1(VALU_DEP_1)
	s_or_b64 s[16:17], s[14:15], 0x10000000000
	v_lshlrev_b64_e32 v[8:9], 1, v[8:9]
	s_delay_alu instid0(VALU_DEP_1) | instskip(NEXT) | instid1(VALU_DEP_1)
	v_or_b32_e32 v8, 1, v8
	v_sub_nc_u64_e64 v[10:11], v[8:9], s[20:21]
	v_cmp_gt_u64_e32 vcc_lo, s[20:21], v[8:9]
	s_delay_alu instid0(VALU_DEP_2) | instskip(SKIP_3) | instid1(SALU_CYCLE_1)
	v_min_u64 v[8:9], v[8:9], v[10:11]
	s_and_b32 s13, vcc_lo, exec_lo
	s_cselect_b32 s15, s15, s17
	s_cselect_b32 s14, s14, s16
	s_or_b64 s[16:17], s[14:15], 0x8000000000
	s_delay_alu instid0(VALU_DEP_1) | instskip(NEXT) | instid1(VALU_DEP_1)
	v_lshlrev_b64_e32 v[8:9], 1, v[8:9]
	v_or_b32_e32 v8, 1, v8
	s_delay_alu instid0(VALU_DEP_1) | instskip(SKIP_1) | instid1(VALU_DEP_2)
	v_sub_nc_u64_e64 v[10:11], v[8:9], s[20:21]
	v_cmp_gt_u64_e32 vcc_lo, s[20:21], v[8:9]
	v_min_u64 v[8:9], v[8:9], v[10:11]
	s_and_b32 s13, vcc_lo, exec_lo
	s_cselect_b32 s15, s15, s17
	s_cselect_b32 s14, s14, s16
	s_delay_alu instid0(SALU_CYCLE_1) | instskip(NEXT) | instid1(VALU_DEP_1)
	s_or_b64 s[16:17], s[14:15], 0x4000000000
	v_lshlrev_b64_e32 v[8:9], 1, v[8:9]
	s_delay_alu instid0(VALU_DEP_1) | instskip(NEXT) | instid1(VALU_DEP_1)
	v_or_b32_e32 v8, 1, v8
	v_sub_nc_u64_e64 v[10:11], v[8:9], s[20:21]
	v_cmp_gt_u64_e32 vcc_lo, s[20:21], v[8:9]
	s_delay_alu instid0(VALU_DEP_2) | instskip(SKIP_3) | instid1(SALU_CYCLE_1)
	v_min_u64 v[8:9], v[8:9], v[10:11]
	s_and_b32 s13, vcc_lo, exec_lo
	s_cselect_b32 s15, s15, s17
	s_cselect_b32 s14, s14, s16
	s_or_b64 s[16:17], s[14:15], 0x2000000000
	s_delay_alu instid0(VALU_DEP_1) | instskip(NEXT) | instid1(VALU_DEP_1)
	v_lshlrev_b64_e32 v[8:9], 1, v[8:9]
	v_or_b32_e32 v8, 1, v8
	s_delay_alu instid0(VALU_DEP_1) | instskip(SKIP_1) | instid1(VALU_DEP_2)
	v_sub_nc_u64_e64 v[10:11], v[8:9], s[20:21]
	v_cmp_gt_u64_e32 vcc_lo, s[20:21], v[8:9]
	v_min_u64 v[8:9], v[8:9], v[10:11]
	s_and_b32 s13, vcc_lo, exec_lo
	s_cselect_b32 s15, s15, s17
	s_cselect_b32 s14, s14, s16
	s_delay_alu instid0(SALU_CYCLE_1) | instskip(NEXT) | instid1(VALU_DEP_1)
	s_or_b64 s[16:17], s[14:15], 0x1000000000
	v_lshlrev_b64_e32 v[8:9], 1, v[8:9]
	s_delay_alu instid0(VALU_DEP_1) | instskip(NEXT) | instid1(VALU_DEP_1)
	v_or_b32_e32 v8, 1, v8
	v_sub_nc_u64_e64 v[10:11], v[8:9], s[20:21]
	v_cmp_gt_u64_e32 vcc_lo, s[20:21], v[8:9]
	s_delay_alu instid0(VALU_DEP_2) | instskip(SKIP_3) | instid1(SALU_CYCLE_1)
	v_min_u64 v[8:9], v[8:9], v[10:11]
	s_and_b32 s13, vcc_lo, exec_lo
	s_cselect_b32 s15, s15, s17
	s_cselect_b32 s14, s14, s16
	s_or_b64 s[16:17], s[14:15], 0x800000000
	s_delay_alu instid0(VALU_DEP_1) | instskip(NEXT) | instid1(VALU_DEP_1)
	v_lshlrev_b64_e32 v[8:9], 1, v[8:9]
	v_or_b32_e32 v8, 1, v8
	s_delay_alu instid0(VALU_DEP_1) | instskip(SKIP_1) | instid1(VALU_DEP_2)
	v_sub_nc_u64_e64 v[10:11], v[8:9], s[20:21]
	v_cmp_gt_u64_e32 vcc_lo, s[20:21], v[8:9]
	v_min_u64 v[8:9], v[8:9], v[10:11]
	s_and_b32 s13, vcc_lo, exec_lo
	s_cselect_b32 s15, s15, s17
	s_cselect_b32 s14, s14, s16
	s_delay_alu instid0(SALU_CYCLE_1) | instskip(NEXT) | instid1(VALU_DEP_1)
	s_or_b64 s[16:17], s[14:15], 0x400000000
	v_lshlrev_b64_e32 v[8:9], 1, v[8:9]
	s_delay_alu instid0(VALU_DEP_1) | instskip(NEXT) | instid1(VALU_DEP_1)
	v_or_b32_e32 v8, 1, v8
	v_sub_nc_u64_e64 v[10:11], v[8:9], s[20:21]
	v_cmp_gt_u64_e32 vcc_lo, s[20:21], v[8:9]
	s_delay_alu instid0(VALU_DEP_2) | instskip(SKIP_3) | instid1(SALU_CYCLE_1)
	v_min_u64 v[8:9], v[8:9], v[10:11]
	s_and_b32 s13, vcc_lo, exec_lo
	s_cselect_b32 s15, s15, s17
	s_cselect_b32 s14, s14, s16
	s_or_b64 s[16:17], s[14:15], 0x200000000
	s_delay_alu instid0(VALU_DEP_1) | instskip(NEXT) | instid1(VALU_DEP_1)
	v_lshlrev_b64_e32 v[8:9], 1, v[8:9]
	v_or_b32_e32 v8, 1, v8
	s_delay_alu instid0(VALU_DEP_1) | instskip(SKIP_1) | instid1(VALU_DEP_2)
	v_sub_nc_u64_e64 v[10:11], v[8:9], s[20:21]
	v_cmp_gt_u64_e32 vcc_lo, s[20:21], v[8:9]
	v_min_u64 v[8:9], v[8:9], v[10:11]
	s_and_b32 s13, vcc_lo, exec_lo
	s_cselect_b32 s15, s15, s17
	s_cselect_b32 s14, s14, s16
	s_delay_alu instid0(SALU_CYCLE_1) | instskip(NEXT) | instid1(VALU_DEP_1)
	s_or_b64 s[16:17], s[14:15], 0x100000000
	v_lshlrev_b64_e32 v[8:9], 1, v[8:9]
	s_delay_alu instid0(VALU_DEP_1) | instskip(NEXT) | instid1(VALU_DEP_1)
	v_or_b32_e32 v8, 1, v8
	v_sub_nc_u64_e64 v[10:11], v[8:9], s[20:21]
	v_cmp_gt_u64_e32 vcc_lo, s[20:21], v[8:9]
	s_delay_alu instid0(VALU_DEP_2) | instskip(SKIP_3) | instid1(SALU_CYCLE_1)
	v_min_u64 v[8:9], v[8:9], v[10:11]
	s_and_b32 s13, vcc_lo, exec_lo
	s_cselect_b32 s15, s15, s17
	s_cselect_b32 s14, s14, s16
	s_or_b64 s[16:17], s[14:15], s[24:25]
	s_delay_alu instid0(VALU_DEP_1) | instskip(NEXT) | instid1(VALU_DEP_1)
	v_lshlrev_b64_e32 v[8:9], 1, v[8:9]
	v_or_b32_e32 v8, 1, v8
	s_delay_alu instid0(VALU_DEP_1) | instskip(SKIP_1) | instid1(VALU_DEP_2)
	v_sub_nc_u64_e64 v[10:11], v[8:9], s[20:21]
	v_cmp_gt_u64_e32 vcc_lo, s[20:21], v[8:9]
	v_min_u64 v[8:9], v[8:9], v[10:11]
	s_and_b32 s13, vcc_lo, exec_lo
	s_cselect_b32 s15, s15, s17
	s_cselect_b32 s14, s14, s16
	s_delay_alu instid0(SALU_CYCLE_1) | instskip(NEXT) | instid1(VALU_DEP_1)
	s_or_b64 s[16:17], s[14:15], 0x40000000
	v_lshlrev_b64_e32 v[8:9], 1, v[8:9]
	s_delay_alu instid0(VALU_DEP_1) | instskip(NEXT) | instid1(VALU_DEP_1)
	v_or_b32_e32 v8, 1, v8
	v_sub_nc_u64_e64 v[10:11], v[8:9], s[20:21]
	v_cmp_gt_u64_e32 vcc_lo, s[20:21], v[8:9]
	s_delay_alu instid0(VALU_DEP_2) | instskip(SKIP_3) | instid1(SALU_CYCLE_1)
	v_min_u64 v[8:9], v[8:9], v[10:11]
	s_and_b32 s13, vcc_lo, exec_lo
	s_cselect_b32 s15, s15, s17
	s_cselect_b32 s14, s14, s16
	s_or_b64 s[16:17], s[14:15], 0x20000000
	s_delay_alu instid0(VALU_DEP_1) | instskip(NEXT) | instid1(VALU_DEP_1)
	v_lshlrev_b64_e32 v[8:9], 1, v[8:9]
	v_or_b32_e32 v8, 1, v8
	s_delay_alu instid0(VALU_DEP_1) | instskip(SKIP_1) | instid1(VALU_DEP_2)
	v_sub_nc_u64_e64 v[10:11], v[8:9], s[20:21]
	v_cmp_gt_u64_e32 vcc_lo, s[20:21], v[8:9]
	v_min_u64 v[8:9], v[8:9], v[10:11]
	s_and_b32 s13, vcc_lo, exec_lo
	s_cselect_b32 s15, s15, s17
	s_cselect_b32 s14, s14, s16
	s_delay_alu instid0(SALU_CYCLE_1) | instskip(NEXT) | instid1(VALU_DEP_1)
	s_or_b64 s[16:17], s[14:15], 0x10000000
	v_lshlrev_b64_e32 v[8:9], 1, v[8:9]
	s_delay_alu instid0(VALU_DEP_1) | instskip(NEXT) | instid1(VALU_DEP_1)
	v_or_b32_e32 v8, 1, v8
	v_sub_nc_u64_e64 v[10:11], v[8:9], s[20:21]
	v_cmp_gt_u64_e32 vcc_lo, s[20:21], v[8:9]
	s_delay_alu instid0(VALU_DEP_2) | instskip(SKIP_3) | instid1(SALU_CYCLE_1)
	v_min_u64 v[8:9], v[8:9], v[10:11]
	s_and_b32 s13, vcc_lo, exec_lo
	s_cselect_b32 s15, s15, s17
	s_cselect_b32 s14, s14, s16
	s_or_b64 s[16:17], s[14:15], 0x8000000
	s_delay_alu instid0(VALU_DEP_1) | instskip(NEXT) | instid1(VALU_DEP_1)
	v_lshlrev_b64_e32 v[8:9], 1, v[8:9]
	v_or_b32_e32 v8, 1, v8
	s_delay_alu instid0(VALU_DEP_1) | instskip(SKIP_1) | instid1(VALU_DEP_2)
	v_sub_nc_u64_e64 v[10:11], v[8:9], s[20:21]
	v_cmp_gt_u64_e32 vcc_lo, s[20:21], v[8:9]
	v_min_u64 v[8:9], v[8:9], v[10:11]
	s_and_b32 s13, vcc_lo, exec_lo
	s_cselect_b32 s15, s15, s17
	s_cselect_b32 s14, s14, s16
	s_delay_alu instid0(SALU_CYCLE_1) | instskip(NEXT) | instid1(VALU_DEP_1)
	s_or_b64 s[16:17], s[14:15], 0x4000000
	v_lshlrev_b64_e32 v[8:9], 1, v[8:9]
	s_delay_alu instid0(VALU_DEP_1) | instskip(NEXT) | instid1(VALU_DEP_1)
	v_or_b32_e32 v8, 1, v8
	v_sub_nc_u64_e64 v[10:11], v[8:9], s[20:21]
	v_cmp_gt_u64_e32 vcc_lo, s[20:21], v[8:9]
	s_delay_alu instid0(VALU_DEP_2) | instskip(SKIP_3) | instid1(SALU_CYCLE_1)
	v_min_u64 v[8:9], v[8:9], v[10:11]
	s_and_b32 s13, vcc_lo, exec_lo
	s_cselect_b32 s15, s15, s17
	s_cselect_b32 s14, s14, s16
	s_or_b64 s[16:17], s[14:15], 0x2000000
	s_delay_alu instid0(VALU_DEP_1) | instskip(NEXT) | instid1(VALU_DEP_1)
	v_lshlrev_b64_e32 v[8:9], 1, v[8:9]
	v_or_b32_e32 v8, 1, v8
	s_delay_alu instid0(VALU_DEP_1) | instskip(SKIP_1) | instid1(VALU_DEP_2)
	v_sub_nc_u64_e64 v[10:11], v[8:9], s[20:21]
	v_cmp_gt_u64_e32 vcc_lo, s[20:21], v[8:9]
	v_min_u64 v[8:9], v[8:9], v[10:11]
	s_and_b32 s13, vcc_lo, exec_lo
	s_cselect_b32 s15, s15, s17
	s_cselect_b32 s14, s14, s16
	s_delay_alu instid0(SALU_CYCLE_1) | instskip(NEXT) | instid1(VALU_DEP_1)
	s_or_b64 s[16:17], s[14:15], 0x1000000
	v_lshlrev_b64_e32 v[8:9], 1, v[8:9]
	s_delay_alu instid0(VALU_DEP_1) | instskip(NEXT) | instid1(VALU_DEP_1)
	v_or_b32_e32 v8, 1, v8
	v_sub_nc_u64_e64 v[10:11], v[8:9], s[20:21]
	v_cmp_gt_u64_e32 vcc_lo, s[20:21], v[8:9]
	s_delay_alu instid0(VALU_DEP_2) | instskip(SKIP_3) | instid1(SALU_CYCLE_1)
	v_min_u64 v[8:9], v[8:9], v[10:11]
	s_and_b32 s13, vcc_lo, exec_lo
	s_cselect_b32 s15, s15, s17
	s_cselect_b32 s14, s14, s16
	s_or_b64 s[16:17], s[14:15], 0x800000
	s_delay_alu instid0(VALU_DEP_1) | instskip(NEXT) | instid1(VALU_DEP_1)
	v_lshlrev_b64_e32 v[8:9], 1, v[8:9]
	v_or_b32_e32 v8, 1, v8
	s_delay_alu instid0(VALU_DEP_1) | instskip(SKIP_1) | instid1(VALU_DEP_2)
	v_sub_nc_u64_e64 v[10:11], v[8:9], s[20:21]
	v_cmp_gt_u64_e32 vcc_lo, s[20:21], v[8:9]
	v_min_u64 v[8:9], v[8:9], v[10:11]
	s_and_b32 s13, vcc_lo, exec_lo
	s_cselect_b32 s15, s15, s17
	s_cselect_b32 s14, s14, s16
	s_delay_alu instid0(SALU_CYCLE_1) | instskip(NEXT) | instid1(VALU_DEP_1)
	s_or_b64 s[16:17], s[14:15], 0x400000
	v_lshlrev_b64_e32 v[8:9], 1, v[8:9]
	s_delay_alu instid0(VALU_DEP_1) | instskip(NEXT) | instid1(VALU_DEP_1)
	v_or_b32_e32 v8, 1, v8
	v_sub_nc_u64_e64 v[10:11], v[8:9], s[20:21]
	v_cmp_gt_u64_e32 vcc_lo, s[20:21], v[8:9]
	s_delay_alu instid0(VALU_DEP_2) | instskip(SKIP_3) | instid1(SALU_CYCLE_1)
	v_min_u64 v[8:9], v[8:9], v[10:11]
	s_and_b32 s13, vcc_lo, exec_lo
	s_cselect_b32 s15, s15, s17
	s_cselect_b32 s14, s14, s16
	s_or_b64 s[16:17], s[14:15], 0x200000
	s_delay_alu instid0(VALU_DEP_1) | instskip(NEXT) | instid1(VALU_DEP_1)
	v_lshlrev_b64_e32 v[8:9], 1, v[8:9]
	v_or_b32_e32 v8, 1, v8
	s_delay_alu instid0(VALU_DEP_1) | instskip(SKIP_1) | instid1(VALU_DEP_2)
	v_sub_nc_u64_e64 v[10:11], v[8:9], s[20:21]
	v_cmp_gt_u64_e32 vcc_lo, s[20:21], v[8:9]
	v_min_u64 v[8:9], v[8:9], v[10:11]
	s_and_b32 s13, vcc_lo, exec_lo
	s_cselect_b32 s15, s15, s17
	s_cselect_b32 s14, s14, s16
	s_delay_alu instid0(SALU_CYCLE_1) | instskip(NEXT) | instid1(VALU_DEP_1)
	s_or_b64 s[16:17], s[14:15], 0x100000
	v_lshlrev_b64_e32 v[8:9], 1, v[8:9]
	s_delay_alu instid0(VALU_DEP_1) | instskip(NEXT) | instid1(VALU_DEP_1)
	v_or_b32_e32 v8, 1, v8
	v_sub_nc_u64_e64 v[10:11], v[8:9], s[20:21]
	v_cmp_gt_u64_e32 vcc_lo, s[20:21], v[8:9]
	s_delay_alu instid0(VALU_DEP_2) | instskip(SKIP_3) | instid1(SALU_CYCLE_1)
	v_min_u64 v[8:9], v[8:9], v[10:11]
	s_and_b32 s13, vcc_lo, exec_lo
	s_cselect_b32 s15, s15, s17
	s_cselect_b32 s14, s14, s16
	s_or_b64 s[16:17], s[14:15], 0x80000
	s_delay_alu instid0(VALU_DEP_1) | instskip(NEXT) | instid1(VALU_DEP_1)
	v_lshlrev_b64_e32 v[8:9], 1, v[8:9]
	v_or_b32_e32 v8, 1, v8
	s_delay_alu instid0(VALU_DEP_1) | instskip(SKIP_1) | instid1(VALU_DEP_2)
	v_sub_nc_u64_e64 v[10:11], v[8:9], s[20:21]
	v_cmp_gt_u64_e32 vcc_lo, s[20:21], v[8:9]
	v_min_u64 v[8:9], v[8:9], v[10:11]
	s_and_b32 s13, vcc_lo, exec_lo
	s_cselect_b32 s15, s15, s17
	s_cselect_b32 s14, s14, s16
	s_delay_alu instid0(SALU_CYCLE_1) | instskip(NEXT) | instid1(VALU_DEP_1)
	s_or_b64 s[16:17], s[14:15], 0x40000
	v_lshlrev_b64_e32 v[8:9], 1, v[8:9]
	s_delay_alu instid0(VALU_DEP_1) | instskip(NEXT) | instid1(VALU_DEP_1)
	v_or_b32_e32 v8, 1, v8
	v_sub_nc_u64_e64 v[10:11], v[8:9], s[20:21]
	v_cmp_gt_u64_e32 vcc_lo, s[20:21], v[8:9]
	s_delay_alu instid0(VALU_DEP_2) | instskip(SKIP_3) | instid1(SALU_CYCLE_1)
	v_min_u64 v[8:9], v[8:9], v[10:11]
	s_and_b32 s13, vcc_lo, exec_lo
	s_cselect_b32 s15, s15, s17
	s_cselect_b32 s14, s14, s16
	s_or_b64 s[16:17], s[14:15], 0x20000
	s_delay_alu instid0(VALU_DEP_1) | instskip(NEXT) | instid1(VALU_DEP_1)
	v_lshlrev_b64_e32 v[8:9], 1, v[8:9]
	v_or_b32_e32 v8, 1, v8
	s_delay_alu instid0(VALU_DEP_1) | instskip(SKIP_1) | instid1(VALU_DEP_2)
	v_sub_nc_u64_e64 v[10:11], v[8:9], s[20:21]
	v_cmp_gt_u64_e32 vcc_lo, s[20:21], v[8:9]
	v_min_u64 v[8:9], v[8:9], v[10:11]
	s_and_b32 s13, vcc_lo, exec_lo
	s_cselect_b32 s15, s15, s17
	s_cselect_b32 s14, s14, s16
	s_delay_alu instid0(SALU_CYCLE_1) | instskip(NEXT) | instid1(VALU_DEP_1)
	s_or_b64 s[16:17], s[14:15], 0x10000
	v_lshlrev_b64_e32 v[8:9], 1, v[8:9]
	s_delay_alu instid0(VALU_DEP_1) | instskip(NEXT) | instid1(VALU_DEP_1)
	v_or_b32_e32 v8, 1, v8
	v_sub_nc_u64_e64 v[10:11], v[8:9], s[20:21]
	v_cmp_gt_u64_e32 vcc_lo, s[20:21], v[8:9]
	s_delay_alu instid0(VALU_DEP_2) | instskip(SKIP_3) | instid1(SALU_CYCLE_1)
	v_min_u64 v[8:9], v[8:9], v[10:11]
	s_and_b32 s13, vcc_lo, exec_lo
	s_cselect_b32 s15, s15, s17
	s_cselect_b32 s14, s14, s16
	s_or_b64 s[16:17], s[14:15], 0x8000
	s_delay_alu instid0(VALU_DEP_1) | instskip(NEXT) | instid1(VALU_DEP_1)
	v_lshlrev_b64_e32 v[8:9], 1, v[8:9]
	v_or_b32_e32 v8, 1, v8
	s_delay_alu instid0(VALU_DEP_1) | instskip(SKIP_1) | instid1(VALU_DEP_2)
	v_sub_nc_u64_e64 v[10:11], v[8:9], s[20:21]
	v_cmp_gt_u64_e32 vcc_lo, s[20:21], v[8:9]
	v_min_u64 v[8:9], v[8:9], v[10:11]
	s_and_b32 s13, vcc_lo, exec_lo
	s_cselect_b32 s15, s15, s17
	s_cselect_b32 s14, s14, s16
	s_delay_alu instid0(SALU_CYCLE_1) | instskip(NEXT) | instid1(VALU_DEP_1)
	s_or_b64 s[16:17], s[14:15], 0x4000
	v_lshlrev_b64_e32 v[8:9], 1, v[8:9]
	s_delay_alu instid0(VALU_DEP_1) | instskip(NEXT) | instid1(VALU_DEP_1)
	v_or_b32_e32 v8, 1, v8
	v_sub_nc_u64_e64 v[10:11], v[8:9], s[20:21]
	v_cmp_gt_u64_e32 vcc_lo, s[20:21], v[8:9]
	s_delay_alu instid0(VALU_DEP_2) | instskip(SKIP_3) | instid1(SALU_CYCLE_1)
	v_min_u64 v[8:9], v[8:9], v[10:11]
	s_and_b32 s13, vcc_lo, exec_lo
	s_cselect_b32 s15, s15, s17
	s_cselect_b32 s14, s14, s16
	s_or_b64 s[16:17], s[14:15], 0x2000
	s_delay_alu instid0(VALU_DEP_1) | instskip(NEXT) | instid1(VALU_DEP_1)
	v_lshlrev_b64_e32 v[8:9], 1, v[8:9]
	v_or_b32_e32 v8, 1, v8
	s_delay_alu instid0(VALU_DEP_1) | instskip(SKIP_1) | instid1(VALU_DEP_2)
	v_sub_nc_u64_e64 v[10:11], v[8:9], s[20:21]
	v_cmp_gt_u64_e32 vcc_lo, s[20:21], v[8:9]
	v_min_u64 v[8:9], v[8:9], v[10:11]
	s_and_b32 s13, vcc_lo, exec_lo
	s_cselect_b32 s15, s15, s17
	s_cselect_b32 s14, s14, s16
	s_delay_alu instid0(SALU_CYCLE_1) | instskip(NEXT) | instid1(VALU_DEP_1)
	s_or_b64 s[16:17], s[14:15], 0x1000
	v_lshlrev_b64_e32 v[8:9], 1, v[8:9]
	s_delay_alu instid0(VALU_DEP_1) | instskip(NEXT) | instid1(VALU_DEP_1)
	v_or_b32_e32 v8, 1, v8
	v_sub_nc_u64_e64 v[10:11], v[8:9], s[20:21]
	v_cmp_gt_u64_e32 vcc_lo, s[20:21], v[8:9]
	s_delay_alu instid0(VALU_DEP_2) | instskip(SKIP_3) | instid1(SALU_CYCLE_1)
	v_min_u64 v[8:9], v[8:9], v[10:11]
	s_and_b32 s13, vcc_lo, exec_lo
	s_cselect_b32 s15, s15, s17
	s_cselect_b32 s14, s14, s16
	s_or_b64 s[16:17], s[14:15], 0x800
	s_delay_alu instid0(VALU_DEP_1) | instskip(NEXT) | instid1(VALU_DEP_1)
	v_lshlrev_b64_e32 v[8:9], 1, v[8:9]
	v_or_b32_e32 v8, 1, v8
	s_delay_alu instid0(VALU_DEP_1) | instskip(SKIP_1) | instid1(VALU_DEP_2)
	v_sub_nc_u64_e64 v[10:11], v[8:9], s[20:21]
	v_cmp_gt_u64_e32 vcc_lo, s[20:21], v[8:9]
	v_min_u64 v[8:9], v[8:9], v[10:11]
	s_and_b32 s13, vcc_lo, exec_lo
	s_cselect_b32 s15, s15, s17
	s_cselect_b32 s14, s14, s16
	s_delay_alu instid0(SALU_CYCLE_1) | instskip(NEXT) | instid1(VALU_DEP_1)
	s_or_b64 s[16:17], s[14:15], 0x400
	v_lshlrev_b64_e32 v[8:9], 1, v[8:9]
	s_delay_alu instid0(VALU_DEP_1) | instskip(NEXT) | instid1(VALU_DEP_1)
	v_or_b32_e32 v8, 1, v8
	v_sub_nc_u64_e64 v[10:11], v[8:9], s[20:21]
	v_cmp_gt_u64_e32 vcc_lo, s[20:21], v[8:9]
	s_delay_alu instid0(VALU_DEP_2) | instskip(SKIP_3) | instid1(SALU_CYCLE_1)
	v_min_u64 v[8:9], v[8:9], v[10:11]
	s_and_b32 s13, vcc_lo, exec_lo
	s_cselect_b32 s15, s15, s17
	s_cselect_b32 s14, s14, s16
	s_or_b64 s[16:17], s[14:15], 0x200
	s_delay_alu instid0(VALU_DEP_1) | instskip(NEXT) | instid1(VALU_DEP_1)
	v_lshlrev_b64_e32 v[8:9], 1, v[8:9]
	v_or_b32_e32 v8, 1, v8
	s_delay_alu instid0(VALU_DEP_1) | instskip(SKIP_1) | instid1(VALU_DEP_2)
	v_sub_nc_u64_e64 v[10:11], v[8:9], s[20:21]
	v_cmp_gt_u64_e32 vcc_lo, s[20:21], v[8:9]
	v_min_u64 v[8:9], v[8:9], v[10:11]
	s_and_b32 s13, vcc_lo, exec_lo
	s_cselect_b32 s15, s15, s17
	s_cselect_b32 s14, s14, s16
	s_delay_alu instid0(SALU_CYCLE_1) | instskip(NEXT) | instid1(VALU_DEP_1)
	s_or_b64 s[16:17], s[14:15], 0x100
	v_lshlrev_b64_e32 v[8:9], 1, v[8:9]
	s_delay_alu instid0(VALU_DEP_1) | instskip(NEXT) | instid1(VALU_DEP_1)
	v_or_b32_e32 v8, 1, v8
	v_sub_nc_u64_e64 v[10:11], v[8:9], s[20:21]
	v_cmp_gt_u64_e32 vcc_lo, s[20:21], v[8:9]
	s_delay_alu instid0(VALU_DEP_2) | instskip(SKIP_3) | instid1(SALU_CYCLE_1)
	v_min_u64 v[8:9], v[8:9], v[10:11]
	s_and_b32 s13, vcc_lo, exec_lo
	s_cselect_b32 s15, s15, s17
	s_cselect_b32 s14, s14, s16
	s_or_b64 s[16:17], s[14:15], 0x80
	s_delay_alu instid0(VALU_DEP_1) | instskip(NEXT) | instid1(VALU_DEP_1)
	v_lshlrev_b64_e32 v[8:9], 1, v[8:9]
	v_or_b32_e32 v8, 1, v8
	s_delay_alu instid0(VALU_DEP_1) | instskip(SKIP_1) | instid1(VALU_DEP_2)
	v_sub_nc_u64_e64 v[10:11], v[8:9], s[20:21]
	v_cmp_gt_u64_e32 vcc_lo, s[20:21], v[8:9]
	v_min_u64 v[8:9], v[8:9], v[10:11]
	s_and_b32 s13, vcc_lo, exec_lo
	s_cselect_b32 s15, s15, s17
	s_cselect_b32 s14, s14, s16
	s_delay_alu instid0(SALU_CYCLE_1) | instskip(NEXT) | instid1(VALU_DEP_1)
	s_or_b64 s[16:17], s[14:15], 64
	v_lshlrev_b64_e32 v[8:9], 1, v[8:9]
	s_delay_alu instid0(VALU_DEP_1) | instskip(NEXT) | instid1(VALU_DEP_1)
	v_or_b32_e32 v8, 1, v8
	v_sub_nc_u64_e64 v[10:11], v[8:9], s[20:21]
	v_cmp_gt_u64_e32 vcc_lo, s[20:21], v[8:9]
	s_delay_alu instid0(VALU_DEP_2) | instskip(SKIP_3) | instid1(SALU_CYCLE_1)
	v_min_u64 v[8:9], v[8:9], v[10:11]
	s_and_b32 s13, vcc_lo, exec_lo
	s_cselect_b32 s15, s15, s17
	s_cselect_b32 s14, s14, s16
	s_or_b64 s[16:17], s[14:15], 32
	s_delay_alu instid0(VALU_DEP_1) | instskip(NEXT) | instid1(VALU_DEP_1)
	v_lshlrev_b64_e32 v[8:9], 1, v[8:9]
	v_or_b32_e32 v8, 1, v8
	s_delay_alu instid0(VALU_DEP_1) | instskip(SKIP_1) | instid1(VALU_DEP_2)
	v_sub_nc_u64_e64 v[10:11], v[8:9], s[20:21]
	v_cmp_gt_u64_e32 vcc_lo, s[20:21], v[8:9]
	v_min_u64 v[8:9], v[8:9], v[10:11]
	s_and_b32 s13, vcc_lo, exec_lo
	s_cselect_b32 s15, s15, s17
	s_cselect_b32 s14, s14, s16
	s_delay_alu instid0(SALU_CYCLE_1) | instskip(NEXT) | instid1(VALU_DEP_1)
	s_or_b64 s[16:17], s[14:15], 16
	v_lshlrev_b64_e32 v[8:9], 1, v[8:9]
	s_delay_alu instid0(VALU_DEP_1) | instskip(NEXT) | instid1(VALU_DEP_1)
	v_or_b32_e32 v8, 1, v8
	v_sub_nc_u64_e64 v[10:11], v[8:9], s[20:21]
	v_cmp_gt_u64_e32 vcc_lo, s[20:21], v[8:9]
	s_delay_alu instid0(VALU_DEP_2) | instskip(SKIP_3) | instid1(SALU_CYCLE_1)
	v_min_u64 v[8:9], v[8:9], v[10:11]
	s_and_b32 s13, vcc_lo, exec_lo
	s_cselect_b32 s15, s15, s17
	s_cselect_b32 s14, s14, s16
	s_or_b64 s[16:17], s[14:15], 8
	s_delay_alu instid0(VALU_DEP_1) | instskip(NEXT) | instid1(VALU_DEP_1)
	v_lshlrev_b64_e32 v[8:9], 1, v[8:9]
	v_or_b32_e32 v8, 1, v8
	s_delay_alu instid0(VALU_DEP_1) | instskip(SKIP_1) | instid1(VALU_DEP_2)
	v_sub_nc_u64_e64 v[10:11], v[8:9], s[20:21]
	v_cmp_gt_u64_e32 vcc_lo, s[20:21], v[8:9]
	v_min_u64 v[8:9], v[8:9], v[10:11]
	s_and_b32 s13, vcc_lo, exec_lo
	s_cselect_b32 s15, s15, s17
	s_cselect_b32 s14, s14, s16
	s_delay_alu instid0(SALU_CYCLE_1) | instskip(NEXT) | instid1(VALU_DEP_1)
	s_or_b64 s[16:17], s[14:15], 4
	v_lshlrev_b64_e32 v[8:9], 1, v[8:9]
	s_delay_alu instid0(VALU_DEP_1) | instskip(NEXT) | instid1(VALU_DEP_1)
	v_or_b32_e32 v8, 1, v8
	v_sub_nc_u64_e64 v[10:11], v[8:9], s[20:21]
	v_cmp_gt_u64_e32 vcc_lo, s[20:21], v[8:9]
	s_delay_alu instid0(VALU_DEP_2) | instskip(SKIP_3) | instid1(SALU_CYCLE_1)
	v_min_u64 v[8:9], v[8:9], v[10:11]
	s_and_b32 s13, vcc_lo, exec_lo
	s_cselect_b32 s15, s15, s17
	s_cselect_b32 s14, s14, s16
	s_or_b64 s[16:17], s[14:15], 2
	s_delay_alu instid0(VALU_DEP_1) | instskip(NEXT) | instid1(VALU_DEP_1)
	v_lshlrev_b64_e32 v[8:9], 1, v[8:9]
	v_or_b32_e32 v8, 1, v8
	s_delay_alu instid0(VALU_DEP_1) | instskip(SKIP_1) | instid1(VALU_DEP_2)
	v_sub_nc_u64_e64 v[10:11], v[8:9], s[20:21]
	v_cmp_gt_u64_e32 vcc_lo, s[20:21], v[8:9]
	v_min_u64 v[8:9], v[8:9], v[10:11]
	s_and_b32 s13, vcc_lo, exec_lo
	s_cselect_b32 s13, s15, s17
	s_cselect_b32 s14, s14, s16
	v_mov_b32_e32 v45, s13
	s_delay_alu instid0(VALU_DEP_2) | instskip(NEXT) | instid1(VALU_DEP_1)
	v_lshlrev_b64_e32 v[8:9], 1, v[8:9]
	v_or_b32_e32 v8, 1, v8
	s_delay_alu instid0(VALU_DEP_1) | instskip(SKIP_1) | instid1(VALU_DEP_1)
	v_cmp_le_u64_e32 vcc_lo, s[20:21], v[8:9]
	v_cndmask_b32_e64 v2, 0, 1, vcc_lo
	v_or_b32_e32 v44, s14, v2
.LBB2_586:                              ;   in Loop: Header=BB2_499 Depth=2
	v_ashrrev_i32_e32 v2, 31, v115
	s_mov_b32 s45, exec_lo
	s_delay_alu instid0(VALU_DEP_1) | instskip(NEXT) | instid1(VALU_DEP_1)
	v_dual_sub_nc_u32 v79, v115, v36 :: v_dual_lshrrev_b32 v2, 23, v2
	v_add_nc_u32_e32 v2, v115, v2
	s_delay_alu instid0(VALU_DEP_1) | instskip(NEXT) | instid1(VALU_DEP_1)
	v_and_b32_e32 v89, 0xfffffe00, v2
	v_dual_ashrrev_i32 v2, 9, v2 :: v_dual_sub_nc_u32 v91, v115, v89
	s_delay_alu instid0(VALU_DEP_1) | instskip(NEXT) | instid1(VALU_DEP_2)
	v_sub_nc_u32_e32 v2, v2, v74
	v_cmp_lt_i32_e64 s13, 15, v91
	s_delay_alu instid0(VALU_DEP_1)
	v_add_co_ci_u32_e64 v92, null, 0, v2, s13
	v_cmpx_lt_i32_e32 15, v79
	s_cbranch_execz .LBB2_592
; %bb.587:                              ;   in Loop: Header=BB2_499 Depth=2
	s_trap 2
	ds_load_b64 v[8:9], v2
	v_add_nc_u64_e32 v[46:47], v[118:119], v[36:37]
	v_add_nc_u64_e32 v[56:57], v[40:41], v[36:37]
	;; [unrolled: 1-line block ×3, first 2 shown]
	v_dual_mov_b32 v62, v44 :: v_dual_mov_b32 v63, v3
	s_cmp_lt_i32 s44, 0
	s_mov_b32 s47, 0
	s_cselect_b32 s77, -1, 0
	s_wait_dscnt 0x0
	v_add_nc_u64_e32 v[58:59], v[8:9], v[36:37]
.LBB2_588:                              ;   Parent Loop BB2_47 Depth=1
                                        ;     Parent Loop BB2_499 Depth=2
                                        ; =>    This Loop Header: Depth=3
                                        ;         Child Loop BB2_589 Depth 4
	global_load_b128 v[8:11], v[46:47], off th:TH_LOAD_NT
	global_load_b128 v[104:107], v[58:59], off th:TH_LOAD_NT
	s_mov_b64 s[16:17], 0
	s_mov_b32 s78, -1
	s_wait_loadcnt 0x0
	v_add_nc_u64_e32 v[8:9], v[104:105], v[8:9]
	v_add_nc_u64_e32 v[10:11], v[106:107], v[10:11]
	v_mov_b32_e32 v105, v3
	s_delay_alu instid0(VALU_DEP_3) | instskip(SKIP_1) | instid1(VALU_DEP_4)
	v_cmp_gt_i64_e32 vcc_lo, 0, v[8:9]
	v_sub_nc_u64_e32 v[94:95], 0, v[8:9]
	v_cmp_gt_i64_e64 s14, 0, v[10:11]
	v_sub_nc_u64_e32 v[106:107], 0, v[10:11]
	s_and_b32 vcc_lo, s77, vcc_lo
	v_dual_cndmask_b32 v9, v9, v95 :: v_dual_cndmask_b32 v8, v8, v94
	s_and_b32 s14, s77, s14
	s_delay_alu instid0(VALU_DEP_2) | instid1(SALU_CYCLE_1)
	v_dual_cndmask_b32 v11, v11, v107, s14 :: v_dual_cndmask_b32 v10, v10, v106, s14
	s_delay_alu instid0(VALU_DEP_2) | instskip(NEXT) | instid1(VALU_DEP_1)
	v_dual_mov_b32 v2, v8 :: v_dual_mov_b32 v107, v3
	v_mul_u64_e32 v[94:95], v[2:3], v[62:63]
	s_delay_alu instid0(VALU_DEP_1) | instskip(NEXT) | instid1(VALU_DEP_1)
	v_mov_b32_e32 v2, v95
	v_mad_nc_u64_u32 v[94:95], v9, v44, v[2:3]
	s_delay_alu instid0(VALU_DEP_1) | instskip(NEXT) | instid1(VALU_DEP_1)
	v_dual_mov_b32 v2, v94 :: v_dual_mov_b32 v104, v95
	v_mad_nc_u64_u32 v[94:95], v8, v45, v[2:3]
	s_delay_alu instid0(VALU_DEP_2) | instskip(NEXT) | instid1(VALU_DEP_2)
	v_mad_nc_u64_u32 v[104:105], v9, v45, v[104:105]
	v_mov_b32_e32 v2, v95
	s_delay_alu instid0(VALU_DEP_1) | instskip(SKIP_1) | instid1(VALU_DEP_1)
	v_add_nc_u64_e32 v[94:95], v[104:105], v[2:3]
	v_mov_b32_e32 v2, v10
	v_mul_u64_e32 v[104:105], v[2:3], v[62:63]
	s_delay_alu instid0(VALU_DEP_1) | instskip(NEXT) | instid1(VALU_DEP_1)
	v_mov_b32_e32 v2, v105
	v_mad_nc_u64_u32 v[104:105], v11, v44, v[2:3]
	s_delay_alu instid0(VALU_DEP_1) | instskip(NEXT) | instid1(VALU_DEP_1)
	v_dual_mov_b32 v2, v104 :: v_dual_mov_b32 v106, v105
	v_mad_nc_u64_u32 v[104:105], v10, v45, v[2:3]
	s_delay_alu instid0(VALU_DEP_2) | instskip(NEXT) | instid1(VALU_DEP_2)
	v_mad_nc_u64_u32 v[106:107], v11, v45, v[106:107]
	v_mov_b32_e32 v2, v105
	s_delay_alu instid0(VALU_DEP_1) | instskip(SKIP_1) | instid1(VALU_DEP_2)
	v_add_nc_u64_e32 v[104:105], v[106:107], v[2:3]
	v_mul_u64_e32 v[106:107], s[20:21], v[94:95]
	v_mul_u64_e32 v[108:109], s[20:21], v[104:105]
	s_delay_alu instid0(VALU_DEP_2) | instskip(SKIP_1) | instid1(VALU_DEP_3)
	v_sub_nc_u64_e32 v[8:9], v[8:9], v[106:107]
	v_mov_b32_e32 v107, s21
	v_sub_nc_u64_e32 v[10:11], v[10:11], v[108:109]
	s_delay_alu instid0(VALU_DEP_3) | instskip(SKIP_1) | instid1(VALU_DEP_2)
	v_cmp_le_u64_e64 s15, s[20:21], v[8:9]
	v_mov_b32_e32 v109, s21
	v_cndmask_b32_e64 v106, 0, 1, s15
	s_delay_alu instid0(VALU_DEP_4) | instskip(NEXT) | instid1(VALU_DEP_2)
	v_cmp_le_u64_e64 s15, s[20:21], v[10:11]
	v_add_nc_u64_e32 v[8:9], v[94:95], v[106:107]
	s_delay_alu instid0(VALU_DEP_2) | instskip(NEXT) | instid1(VALU_DEP_2)
	v_cndmask_b32_e64 v108, 0, 1, s15
	v_sub_nc_u64_e32 v[94:95], 0, v[8:9]
	s_delay_alu instid0(VALU_DEP_2) | instskip(NEXT) | instid1(VALU_DEP_2)
	v_add_nc_u64_e32 v[10:11], v[104:105], v[108:109]
	v_dual_cndmask_b32 v9, v9, v95 :: v_dual_cndmask_b32 v8, v8, v94
	s_delay_alu instid0(VALU_DEP_2) | instskip(NEXT) | instid1(VALU_DEP_1)
	v_sub_nc_u64_e32 v[104:105], 0, v[10:11]
	v_dual_cndmask_b32 v11, v11, v105, s14 :: v_dual_cndmask_b32 v10, v10, v104, s14
.LBB2_589:                              ;   Parent Loop BB2_47 Depth=1
                                        ;     Parent Loop BB2_499 Depth=2
                                        ;       Parent Loop BB2_588 Depth=3
                                        ; =>      This Inner Loop Header: Depth=4
	s_cmp_eq_u32 s16, 1
	s_cselect_b32 vcc_lo, -1, 0
	s_cmp_eq_u32 s16, 0
	s_wait_xcnt 0x0
	v_dual_cndmask_b32 v95, v57, v61 :: v_dual_cndmask_b32 v94, v56, v60
	s_cselect_b32 s14, -1, 0
	s_and_b32 s15, exec_lo, s78
	s_mov_b64 s[16:17], 1
	s_mov_b32 s78, 0
	v_add_nc_u64_e32 v[104:105], 0x200, v[94:95]
	global_store_b128 v[94:95], v[8:11], off th:TH_STORE_NT
	v_dual_cndmask_b32 v61, v61, v105 :: v_dual_cndmask_b32 v60, v60, v104
	v_dual_cndmask_b32 v57, v57, v105, s14 :: v_dual_cndmask_b32 v56, v56, v104, s14
	s_mov_b32 vcc_lo, s15
	s_cbranch_vccnz .LBB2_589
; %bb.590:                              ;   in Loop: Header=BB2_588 Depth=3
	v_sub_nc_u32_e32 v79, v79, v52
	s_wait_xcnt 0x2
	v_add_nc_u64_e32 v[46:47], v[46:47], v[82:83]
	s_wait_xcnt 0x1
	v_add_nc_u64_e32 v[58:59], v[58:59], v[82:83]
	v_add_nc_u64_e32 v[56:57], v[56:57], v[68:69]
	;; [unrolled: 1-line block ×3, first 2 shown]
	v_cmp_gt_i32_e32 vcc_lo, 16, v79
	v_sub_nc_u32_e32 v92, v92, v32
	s_or_b32 s47, vcc_lo, s47
	s_wait_xcnt 0x0
	s_and_not1_b32 exec_lo, exec_lo, s47
	s_cbranch_execnz .LBB2_588
; %bb.591:                              ;   in Loop: Header=BB2_499 Depth=2
	s_or_b32 exec_lo, exec_lo, s47
.LBB2_592:                              ;   in Loop: Header=BB2_499 Depth=2
	s_delay_alu instid0(SALU_CYCLE_1) | instskip(SKIP_2) | instid1(VALU_DEP_1)
	s_or_b32 exec_lo, exec_lo, s45
	v_and_b32_e32 v8, 8, v115
	s_mov_b32 s45, exec_lo
                                        ; implicit-def: $vgpr88
                                        ; implicit-def: $vgpr62
                                        ; implicit-def: $vgpr2
                                        ; implicit-def: $vgpr79
	v_cndmask_b32_e64 v90, v91, v8, s13
	s_delay_alu instid0(VALU_DEP_1)
	v_cmpx_ne_u32_e32 0, v90
	s_cbranch_execz .LBB2_607
; %bb.593:                              ;   in Loop: Header=BB2_499 Depth=2
	v_mov_b64_e32 v[44:45], -1
	s_cmp_lt_i32 s20, 1
	s_cbranch_scc1 .LBB2_598
; %bb.594:                              ;   in Loop: Header=BB2_499 Depth=2
	s_cmp_lg_u32 s20, 1
	s_cbranch_scc1 .LBB2_596
; %bb.595:                              ;   in Loop: Header=BB2_499 Depth=2
	s_mov_b64 s[16:17], 0x8000000000000000
	s_mov_b64 s[14:15], 1
	s_branch .LBB2_597
.LBB2_596:                              ;   in Loop: Header=BB2_499 Depth=2
	s_mov_b64 s[14:15], 3
	s_mov_b64 s[16:17], 0
.LBB2_597:                              ;   in Loop: Header=BB2_499 Depth=2
	v_cmp_lt_u64_e64 s15, s[14:15], s[20:21]
	s_or_b64 s[78:79], s[16:17], 2.0
	s_and_b32 s15, s15, exec_lo
	s_cselect_b32 s15, 0, s20
	s_cselect_b32 s17, s17, s79
	;; [unrolled: 1-line block ×3, first 2 shown]
	s_sub_co_i32 s14, s14, s15
	s_mov_b32 s15, s21
	s_lshl_b32 s14, s14, 1
	s_or_b64 s[78:79], s[16:17], 0x2000000000000000
	s_or_b32 s14, s14, 1
	s_delay_alu instid0(SALU_CYCLE_1) | instskip(SKIP_4) | instid1(SALU_CYCLE_1)
	v_cmp_lt_u64_e64 s47, s[14:15], s[20:21]
	s_and_b32 s47, s47, exec_lo
	s_cselect_b32 s17, s17, s79
	s_cselect_b32 s16, s16, s78
	s_sub_nc_u64 s[78:79], s[14:15], s[20:21]
	v_min_u64 v[10:11], s[14:15], s[78:79]
	s_or_b64 s[14:15], s[16:17], 0x1000000000000000
	s_delay_alu instid0(VALU_DEP_1) | instskip(NEXT) | instid1(VALU_DEP_1)
	v_lshlrev_b64_e32 v[10:11], 1, v[10:11]
	v_or_b32_e32 v10, 1, v10
	s_delay_alu instid0(VALU_DEP_1) | instskip(SKIP_1) | instid1(VALU_DEP_2)
	v_sub_nc_u64_e64 v[44:45], v[10:11], s[20:21]
	v_cmp_gt_u64_e32 vcc_lo, s[20:21], v[10:11]
	v_min_u64 v[10:11], v[10:11], v[44:45]
	s_and_b32 s47, vcc_lo, exec_lo
	s_cselect_b32 s15, s17, s15
	s_cselect_b32 s14, s16, s14
	s_delay_alu instid0(SALU_CYCLE_1) | instskip(NEXT) | instid1(VALU_DEP_1)
	s_or_b64 s[16:17], s[14:15], 0x800000000000000
	v_lshlrev_b64_e32 v[10:11], 1, v[10:11]
	s_delay_alu instid0(VALU_DEP_1) | instskip(NEXT) | instid1(VALU_DEP_1)
	v_or_b32_e32 v10, 1, v10
	v_sub_nc_u64_e64 v[44:45], v[10:11], s[20:21]
	v_cmp_gt_u64_e32 vcc_lo, s[20:21], v[10:11]
	s_delay_alu instid0(VALU_DEP_2) | instskip(SKIP_3) | instid1(SALU_CYCLE_1)
	v_min_u64 v[10:11], v[10:11], v[44:45]
	s_and_b32 s47, vcc_lo, exec_lo
	s_cselect_b32 s15, s15, s17
	s_cselect_b32 s14, s14, s16
	s_or_b64 s[16:17], s[14:15], 0x400000000000000
	s_delay_alu instid0(VALU_DEP_1) | instskip(NEXT) | instid1(VALU_DEP_1)
	v_lshlrev_b64_e32 v[10:11], 1, v[10:11]
	v_or_b32_e32 v10, 1, v10
	s_delay_alu instid0(VALU_DEP_1) | instskip(SKIP_1) | instid1(VALU_DEP_2)
	v_sub_nc_u64_e64 v[44:45], v[10:11], s[20:21]
	v_cmp_gt_u64_e32 vcc_lo, s[20:21], v[10:11]
	v_min_u64 v[10:11], v[10:11], v[44:45]
	s_and_b32 s47, vcc_lo, exec_lo
	s_cselect_b32 s15, s15, s17
	s_cselect_b32 s14, s14, s16
	s_delay_alu instid0(SALU_CYCLE_1) | instskip(NEXT) | instid1(VALU_DEP_1)
	s_or_b64 s[16:17], s[14:15], 0x200000000000000
	v_lshlrev_b64_e32 v[10:11], 1, v[10:11]
	s_delay_alu instid0(VALU_DEP_1) | instskip(NEXT) | instid1(VALU_DEP_1)
	v_or_b32_e32 v10, 1, v10
	v_sub_nc_u64_e64 v[44:45], v[10:11], s[20:21]
	v_cmp_gt_u64_e32 vcc_lo, s[20:21], v[10:11]
	s_delay_alu instid0(VALU_DEP_2) | instskip(SKIP_3) | instid1(SALU_CYCLE_1)
	v_min_u64 v[10:11], v[10:11], v[44:45]
	s_and_b32 s47, vcc_lo, exec_lo
	s_cselect_b32 s15, s15, s17
	s_cselect_b32 s14, s14, s16
	;; [unrolled: 23-line block ×29, first 2 shown]
	s_or_b64 s[16:17], s[14:15], 4
	s_delay_alu instid0(VALU_DEP_1) | instskip(NEXT) | instid1(VALU_DEP_1)
	v_lshlrev_b64_e32 v[10:11], 1, v[10:11]
	v_or_b32_e32 v10, 1, v10
	s_delay_alu instid0(VALU_DEP_1) | instskip(SKIP_1) | instid1(VALU_DEP_2)
	v_sub_nc_u64_e64 v[44:45], v[10:11], s[20:21]
	v_cmp_gt_u64_e32 vcc_lo, s[20:21], v[10:11]
	v_min_u64 v[10:11], v[10:11], v[44:45]
	s_and_b32 s47, vcc_lo, exec_lo
	s_cselect_b32 s15, s15, s17
	s_cselect_b32 s14, s14, s16
	s_delay_alu instid0(SALU_CYCLE_1) | instskip(NEXT) | instid1(VALU_DEP_1)
	s_or_b64 s[16:17], s[14:15], 2
	v_lshlrev_b64_e32 v[10:11], 1, v[10:11]
	s_delay_alu instid0(VALU_DEP_1) | instskip(NEXT) | instid1(VALU_DEP_1)
	v_or_b32_e32 v10, 1, v10
	v_sub_nc_u64_e64 v[44:45], v[10:11], s[20:21]
	v_cmp_gt_u64_e32 vcc_lo, s[20:21], v[10:11]
	s_delay_alu instid0(VALU_DEP_2) | instskip(SKIP_4) | instid1(VALU_DEP_2)
	v_min_u64 v[10:11], v[10:11], v[44:45]
	s_and_b32 s47, vcc_lo, exec_lo
	s_cselect_b32 s15, s15, s17
	s_cselect_b32 s14, s14, s16
	v_mov_b32_e32 v45, s15
	v_lshlrev_b64_e32 v[10:11], 1, v[10:11]
	s_delay_alu instid0(VALU_DEP_1) | instskip(NEXT) | instid1(VALU_DEP_1)
	v_or_b32_e32 v10, 1, v10
	v_cmp_le_u64_e32 vcc_lo, s[20:21], v[10:11]
	v_cndmask_b32_e64 v2, 0, 1, vcc_lo
	s_delay_alu instid0(VALU_DEP_1)
	v_or_b32_e32 v44, s14, v2
.LBB2_598:                              ;   in Loop: Header=BB2_499 Depth=2
	v_cmp_lt_i32_e32 vcc_lo, 0, v92
	s_mov_b32 s47, exec_lo
	v_dual_ashrrev_i32 v10, 31, v90 :: v_dual_sub_nc_u32 v8, v91, v8
	s_delay_alu instid0(VALU_DEP_1) | instskip(NEXT) | instid1(VALU_DEP_1)
	v_dual_cndmask_b32 v2, 0, v32, vcc_lo :: v_dual_lshrrev_b32 v10, 23, v10
	v_sub_nc_u32_e32 v2, v2, v92
	s_delay_alu instid0(VALU_DEP_1) | instskip(NEXT) | instid1(VALU_DEP_1)
	v_lshl_or_b32 v2, v2, 5, v73
	v_ashrrev_i32_e32 v9, 31, v2
	s_delay_alu instid0(VALU_DEP_1) | instskip(NEXT) | instid1(VALU_DEP_1)
	v_lshrrev_b32_e32 v9, 27, v9
	v_add_nc_u32_e32 v9, v2, v9
	v_add_nc_u32_e32 v10, v90, v10
	s_delay_alu instid0(VALU_DEP_2) | instskip(SKIP_1) | instid1(VALU_DEP_3)
	v_and_b32_e32 v11, 0xffffffe0, v9
	v_ashrrev_i32_e32 v9, 5, v9
	v_and_b32_e32 v92, 0xfffffe00, v10
	s_delay_alu instid0(VALU_DEP_3) | instskip(NEXT) | instid1(VALU_DEP_1)
	v_dual_ashrrev_i32 v10, 9, v10 :: v_dual_sub_nc_u32 v93, v2, v11
	v_dual_sub_nc_u32 v91, v90, v92 :: v_dual_lshlrev_b32 v2, 4, v93
	s_delay_alu instid0(VALU_DEP_1) | instskip(SKIP_1) | instid1(VALU_DEP_3)
	v_lshl_add_u32 v2, v9, 9, v2
	v_cndmask_b32_e64 v8, 0, v8, s13
	v_cmp_lt_i32_e64 s13, 15, v91
	s_delay_alu instid0(VALU_DEP_2) | instskip(NEXT) | instid1(VALU_DEP_2)
	v_dual_sub_nc_u32 v79, v90, v2 :: v_dual_add_nc_u32 v89, v8, v89
	v_add_co_ci_u32_e64 v10, null, 0, v10, s13
	s_delay_alu instid0(VALU_DEP_1) | instskip(NEXT) | instid1(VALU_DEP_3)
	v_sub_nc_u32_e32 v94, v10, v9
	v_cmpx_lt_i32_e32 15, v79
	s_cbranch_execz .LBB2_604
; %bb.599:                              ;   in Loop: Header=BB2_499 Depth=2
	s_trap 2
	ds_load_b64 v[8:9], v2
	v_dual_add_nc_u32 v10, v2, v89 :: v_dual_mov_b32 v62, v44
	s_cmp_lt_i32 s44, 0
	v_mov_b32_e32 v63, v3
	s_mov_b32 s77, 0
	s_delay_alu instid0(VALU_DEP_2) | instskip(SKIP_1) | instid1(VALU_DEP_1)
	v_ashrrev_i32_e32 v11, 31, v10
	s_cselect_b32 s78, -1, 0
	v_add_nc_u64_e32 v[46:47], v[10:11], v[118:119]
	v_add_nc_u64_e32 v[56:57], v[10:11], v[40:41]
	;; [unrolled: 1-line block ×3, first 2 shown]
	s_wait_dscnt 0x0
	v_add_nc_u64_e32 v[58:59], v[8:9], v[10:11]
.LBB2_600:                              ;   Parent Loop BB2_47 Depth=1
                                        ;     Parent Loop BB2_499 Depth=2
                                        ; =>    This Loop Header: Depth=3
                                        ;         Child Loop BB2_601 Depth 4
	global_load_b128 v[8:11], v[46:47], off th:TH_LOAD_NT
	global_load_b128 v[104:107], v[58:59], off th:TH_LOAD_NT
	s_mov_b64 s[16:17], 0
	s_mov_b32 s79, -1
	s_wait_loadcnt 0x0
	v_add_nc_u64_e32 v[8:9], v[104:105], v[8:9]
	v_add_nc_u64_e32 v[10:11], v[106:107], v[10:11]
	v_mov_b32_e32 v107, v3
	s_delay_alu instid0(VALU_DEP_3) | instskip(SKIP_1) | instid1(VALU_DEP_4)
	v_cmp_gt_i64_e32 vcc_lo, 0, v[8:9]
	v_sub_nc_u64_e32 v[104:105], 0, v[8:9]
	v_cmp_gt_i64_e64 s14, 0, v[10:11]
	v_sub_nc_u64_e32 v[108:109], 0, v[10:11]
	s_and_b32 vcc_lo, s78, vcc_lo
	v_dual_cndmask_b32 v9, v9, v105 :: v_dual_cndmask_b32 v8, v8, v104
	s_and_b32 s14, s78, s14
	s_delay_alu instid0(VALU_DEP_2) | instid1(SALU_CYCLE_1)
	v_dual_cndmask_b32 v11, v11, v109, s14 :: v_dual_cndmask_b32 v10, v10, v108, s14
	s_delay_alu instid0(VALU_DEP_2) | instskip(NEXT) | instid1(VALU_DEP_1)
	v_dual_mov_b32 v2, v8 :: v_dual_mov_b32 v109, v3
	v_mul_u64_e32 v[104:105], v[2:3], v[62:63]
	s_delay_alu instid0(VALU_DEP_1) | instskip(NEXT) | instid1(VALU_DEP_1)
	v_mov_b32_e32 v2, v105
	v_mad_nc_u64_u32 v[104:105], v9, v44, v[2:3]
	s_delay_alu instid0(VALU_DEP_1) | instskip(NEXT) | instid1(VALU_DEP_1)
	v_dual_mov_b32 v2, v104 :: v_dual_mov_b32 v106, v105
	v_mad_nc_u64_u32 v[104:105], v8, v45, v[2:3]
	s_delay_alu instid0(VALU_DEP_2) | instskip(NEXT) | instid1(VALU_DEP_2)
	v_mad_nc_u64_u32 v[106:107], v9, v45, v[106:107]
	v_mov_b32_e32 v2, v105
	s_delay_alu instid0(VALU_DEP_1) | instskip(SKIP_1) | instid1(VALU_DEP_1)
	v_add_nc_u64_e32 v[104:105], v[106:107], v[2:3]
	v_mov_b32_e32 v2, v10
	v_mul_u64_e32 v[106:107], v[2:3], v[62:63]
	s_delay_alu instid0(VALU_DEP_1) | instskip(NEXT) | instid1(VALU_DEP_1)
	v_mov_b32_e32 v2, v107
	v_mad_nc_u64_u32 v[106:107], v11, v44, v[2:3]
	s_delay_alu instid0(VALU_DEP_1) | instskip(NEXT) | instid1(VALU_DEP_1)
	v_dual_mov_b32 v2, v106 :: v_dual_mov_b32 v108, v107
	v_mad_nc_u64_u32 v[106:107], v10, v45, v[2:3]
	s_delay_alu instid0(VALU_DEP_2) | instskip(NEXT) | instid1(VALU_DEP_2)
	v_mad_nc_u64_u32 v[108:109], v11, v45, v[108:109]
	v_mov_b32_e32 v2, v107
	s_delay_alu instid0(VALU_DEP_1) | instskip(SKIP_1) | instid1(VALU_DEP_2)
	v_add_nc_u64_e32 v[106:107], v[108:109], v[2:3]
	v_mul_u64_e32 v[108:109], s[20:21], v[104:105]
	v_mul_u64_e32 v[110:111], s[20:21], v[106:107]
	s_delay_alu instid0(VALU_DEP_2) | instskip(SKIP_1) | instid1(VALU_DEP_3)
	v_sub_nc_u64_e32 v[8:9], v[8:9], v[108:109]
	v_mov_b32_e32 v109, s21
	v_sub_nc_u64_e32 v[10:11], v[10:11], v[110:111]
	s_delay_alu instid0(VALU_DEP_3) | instskip(SKIP_1) | instid1(VALU_DEP_2)
	v_cmp_le_u64_e64 s15, s[20:21], v[8:9]
	v_mov_b32_e32 v111, s21
	v_cndmask_b32_e64 v108, 0, 1, s15
	s_delay_alu instid0(VALU_DEP_4) | instskip(NEXT) | instid1(VALU_DEP_2)
	v_cmp_le_u64_e64 s15, s[20:21], v[10:11]
	v_add_nc_u64_e32 v[8:9], v[104:105], v[108:109]
	s_delay_alu instid0(VALU_DEP_2) | instskip(NEXT) | instid1(VALU_DEP_2)
	v_cndmask_b32_e64 v110, 0, 1, s15
	v_sub_nc_u64_e32 v[104:105], 0, v[8:9]
	s_delay_alu instid0(VALU_DEP_2) | instskip(NEXT) | instid1(VALU_DEP_2)
	v_add_nc_u64_e32 v[10:11], v[106:107], v[110:111]
	v_dual_cndmask_b32 v9, v9, v105 :: v_dual_cndmask_b32 v8, v8, v104
	s_delay_alu instid0(VALU_DEP_2) | instskip(NEXT) | instid1(VALU_DEP_1)
	v_sub_nc_u64_e32 v[106:107], 0, v[10:11]
	v_dual_cndmask_b32 v11, v11, v107, s14 :: v_dual_cndmask_b32 v10, v10, v106, s14
.LBB2_601:                              ;   Parent Loop BB2_47 Depth=1
                                        ;     Parent Loop BB2_499 Depth=2
                                        ;       Parent Loop BB2_600 Depth=3
                                        ; =>      This Inner Loop Header: Depth=4
	s_cmp_eq_u32 s16, 1
	s_cselect_b32 vcc_lo, -1, 0
	s_cmp_eq_u32 s16, 0
	s_wait_xcnt 0x0
	v_dual_cndmask_b32 v105, v57, v61 :: v_dual_cndmask_b32 v104, v56, v60
	s_cselect_b32 s14, -1, 0
	s_and_b32 s15, exec_lo, s79
	s_mov_b64 s[16:17], 1
	s_mov_b32 s79, 0
	v_add_nc_u64_e32 v[106:107], 0x200, v[104:105]
	global_store_b128 v[104:105], v[8:11], off th:TH_STORE_NT
	v_dual_cndmask_b32 v61, v61, v107 :: v_dual_cndmask_b32 v60, v60, v106
	v_dual_cndmask_b32 v57, v57, v107, s14 :: v_dual_cndmask_b32 v56, v56, v106, s14
	s_mov_b32 vcc_lo, s15
	s_cbranch_vccnz .LBB2_601
; %bb.602:                              ;   in Loop: Header=BB2_600 Depth=3
	v_sub_nc_u32_e32 v79, v79, v52
	s_wait_xcnt 0x2
	v_add_nc_u64_e32 v[46:47], v[46:47], v[82:83]
	s_wait_xcnt 0x1
	v_add_nc_u64_e32 v[58:59], v[58:59], v[82:83]
	v_add_nc_u64_e32 v[56:57], v[56:57], v[68:69]
	;; [unrolled: 1-line block ×3, first 2 shown]
	v_cmp_gt_i32_e32 vcc_lo, 16, v79
	v_sub_nc_u32_e32 v94, v94, v32
	s_or_b32 s77, vcc_lo, s77
	s_wait_xcnt 0x0
	s_and_not1_b32 exec_lo, exec_lo, s77
	s_cbranch_execnz .LBB2_600
; %bb.603:                              ;   in Loop: Header=BB2_499 Depth=2
	s_or_b32 exec_lo, exec_lo, s77
.LBB2_604:                              ;   in Loop: Header=BB2_499 Depth=2
	s_delay_alu instid0(SALU_CYCLE_1) | instskip(SKIP_3) | instid1(VALU_DEP_1)
	s_or_b32 exec_lo, exec_lo, s47
	v_and_b32_e32 v8, 8, v90
	s_mov_b32 s15, s46
	s_mov_b32 s14, exec_lo
                                        ; implicit-def: $vgpr62
                                        ; implicit-def: $vgpr2
                                        ; implicit-def: $vgpr79
	v_cndmask_b32_e64 v88, v91, v8, s13
	s_delay_alu instid0(VALU_DEP_1)
	v_cmpx_ne_u32_e32 0, v88
	s_cbranch_execz .LBB2_606
; %bb.605:                              ;   in Loop: Header=BB2_499 Depth=2
	v_cmp_lt_i32_e32 vcc_lo, 0, v94
	s_or_b32 s15, s46, exec_lo
	v_sub_nc_u32_e32 v8, v91, v8
	v_cndmask_b32_e32 v2, 0, v32, vcc_lo
	s_delay_alu instid0(VALU_DEP_1) | instskip(NEXT) | instid1(VALU_DEP_1)
	v_dual_cndmask_b32 v8, 0, v8, s13 :: v_dual_sub_nc_u32 v2, v2, v94
	v_add3_u32 v62, v92, v89, v8
	s_delay_alu instid0(VALU_DEP_2) | instskip(NEXT) | instid1(VALU_DEP_1)
	v_lshl_add_u32 v2, v2, 5, v93
	v_ashrrev_i32_e32 v9, 31, v2
	s_delay_alu instid0(VALU_DEP_1) | instskip(NEXT) | instid1(VALU_DEP_1)
	v_lshrrev_b32_e32 v9, 27, v9
	v_add_nc_u32_e32 v9, v2, v9
	s_delay_alu instid0(VALU_DEP_1) | instskip(NEXT) | instid1(VALU_DEP_1)
	v_and_b32_e32 v9, 0xffffffe0, v9
	v_sub_nc_u32_e32 v79, v2, v9
.LBB2_606:                              ;   in Loop: Header=BB2_499 Depth=2
	s_or_b32 exec_lo, exec_lo, s14
	s_delay_alu instid0(SALU_CYCLE_1) | instskip(SKIP_1) | instid1(SALU_CYCLE_1)
	s_and_not1_b32 s13, s46, exec_lo
	s_and_b32 s14, s15, exec_lo
	s_or_b32 s46, s13, s14
.LBB2_607:                              ;   in Loop: Header=BB2_499 Depth=2
	s_or_b32 exec_lo, exec_lo, s45
	v_mov_b32_e32 v63, s44
	s_mov_b64 s[44:45], s[20:21]
	s_and_saveexec_b32 s77, s46
	s_cbranch_execz .LBB2_630
.LBB2_608:                              ;   in Loop: Header=BB2_499 Depth=2
	v_mov_b64_e32 v[8:9], -1
	s_cmp_lt_i32 s20, 1
	s_cbranch_scc1 .LBB2_613
; %bb.609:                              ;   in Loop: Header=BB2_499 Depth=2
	s_cmp_lg_u32 s20, 1
	s_cbranch_scc1 .LBB2_611
; %bb.610:                              ;   in Loop: Header=BB2_499 Depth=2
	s_mov_b64 s[16:17], 0x8000000000000000
	s_mov_b64 s[14:15], 1
	s_branch .LBB2_612
.LBB2_611:                              ;   in Loop: Header=BB2_499 Depth=2
	s_mov_b64 s[14:15], 3
	s_mov_b64 s[16:17], 0
.LBB2_612:                              ;   in Loop: Header=BB2_499 Depth=2
	v_cmp_lt_u64_e64 s13, s[14:15], s[44:45]
	s_or_b64 s[46:47], s[16:17], 2.0
	s_mov_b32 s15, s21
	s_and_b32 s13, s13, exec_lo
	s_cselect_b32 s13, 0, s44
	s_cselect_b32 s17, s17, s47
	;; [unrolled: 1-line block ×3, first 2 shown]
	s_sub_co_i32 s13, s14, s13
	s_or_b64 s[46:47], s[16:17], 0x2000000000000000
	s_lshl_b32 s13, s13, 1
	s_delay_alu instid0(SALU_CYCLE_1) | instskip(NEXT) | instid1(SALU_CYCLE_1)
	s_or_b32 s14, s13, 1
	v_cmp_lt_u64_e64 s13, s[14:15], s[44:45]
	s_and_b32 s13, s13, exec_lo
	s_cselect_b32 s17, s17, s47
	s_cselect_b32 s16, s16, s46
	s_sub_nc_u64 s[46:47], s[14:15], s[44:45]
	s_delay_alu instid0(SALU_CYCLE_1) | instskip(SKIP_1) | instid1(VALU_DEP_1)
	v_min_u64 v[8:9], s[14:15], s[46:47]
	s_or_b64 s[14:15], s[16:17], 0x1000000000000000
	v_lshlrev_b64_e32 v[8:9], 1, v[8:9]
	s_delay_alu instid0(VALU_DEP_1) | instskip(NEXT) | instid1(VALU_DEP_1)
	v_or_b32_e32 v8, 1, v8
	v_sub_nc_u64_e64 v[10:11], v[8:9], s[44:45]
	v_cmp_gt_u64_e32 vcc_lo, s[44:45], v[8:9]
	s_delay_alu instid0(VALU_DEP_2) | instskip(SKIP_3) | instid1(SALU_CYCLE_1)
	v_min_u64 v[8:9], v[8:9], v[10:11]
	s_and_b32 s13, vcc_lo, exec_lo
	s_cselect_b32 s15, s17, s15
	s_cselect_b32 s14, s16, s14
	s_or_b64 s[16:17], s[14:15], 0x800000000000000
	s_delay_alu instid0(VALU_DEP_1) | instskip(NEXT) | instid1(VALU_DEP_1)
	v_lshlrev_b64_e32 v[8:9], 1, v[8:9]
	v_or_b32_e32 v8, 1, v8
	s_delay_alu instid0(VALU_DEP_1) | instskip(SKIP_1) | instid1(VALU_DEP_2)
	v_sub_nc_u64_e64 v[10:11], v[8:9], s[44:45]
	v_cmp_gt_u64_e32 vcc_lo, s[44:45], v[8:9]
	v_min_u64 v[8:9], v[8:9], v[10:11]
	s_and_b32 s13, vcc_lo, exec_lo
	s_cselect_b32 s15, s15, s17
	s_cselect_b32 s14, s14, s16
	s_delay_alu instid0(SALU_CYCLE_1) | instskip(NEXT) | instid1(VALU_DEP_1)
	s_or_b64 s[16:17], s[14:15], 0x400000000000000
	v_lshlrev_b64_e32 v[8:9], 1, v[8:9]
	s_delay_alu instid0(VALU_DEP_1) | instskip(NEXT) | instid1(VALU_DEP_1)
	v_or_b32_e32 v8, 1, v8
	v_sub_nc_u64_e64 v[10:11], v[8:9], s[44:45]
	v_cmp_gt_u64_e32 vcc_lo, s[44:45], v[8:9]
	s_delay_alu instid0(VALU_DEP_2) | instskip(SKIP_3) | instid1(SALU_CYCLE_1)
	v_min_u64 v[8:9], v[8:9], v[10:11]
	s_and_b32 s13, vcc_lo, exec_lo
	s_cselect_b32 s15, s15, s17
	s_cselect_b32 s14, s14, s16
	s_or_b64 s[16:17], s[14:15], 0x200000000000000
	s_delay_alu instid0(VALU_DEP_1) | instskip(NEXT) | instid1(VALU_DEP_1)
	v_lshlrev_b64_e32 v[8:9], 1, v[8:9]
	v_or_b32_e32 v8, 1, v8
	s_delay_alu instid0(VALU_DEP_1) | instskip(SKIP_1) | instid1(VALU_DEP_2)
	v_sub_nc_u64_e64 v[10:11], v[8:9], s[44:45]
	v_cmp_gt_u64_e32 vcc_lo, s[44:45], v[8:9]
	v_min_u64 v[8:9], v[8:9], v[10:11]
	s_and_b32 s13, vcc_lo, exec_lo
	s_cselect_b32 s15, s15, s17
	s_cselect_b32 s14, s14, s16
	s_delay_alu instid0(SALU_CYCLE_1) | instskip(NEXT) | instid1(VALU_DEP_1)
	;; [unrolled: 23-line block ×29, first 2 shown]
	s_or_b64 s[16:17], s[14:15], 4
	v_lshlrev_b64_e32 v[8:9], 1, v[8:9]
	s_delay_alu instid0(VALU_DEP_1) | instskip(NEXT) | instid1(VALU_DEP_1)
	v_or_b32_e32 v8, 1, v8
	v_sub_nc_u64_e64 v[10:11], v[8:9], s[44:45]
	v_cmp_gt_u64_e32 vcc_lo, s[44:45], v[8:9]
	s_delay_alu instid0(VALU_DEP_2) | instskip(SKIP_3) | instid1(SALU_CYCLE_1)
	v_min_u64 v[8:9], v[8:9], v[10:11]
	s_and_b32 s13, vcc_lo, exec_lo
	s_cselect_b32 s15, s15, s17
	s_cselect_b32 s14, s14, s16
	s_or_b64 s[16:17], s[14:15], 2
	s_delay_alu instid0(VALU_DEP_1) | instskip(NEXT) | instid1(VALU_DEP_1)
	v_lshlrev_b64_e32 v[8:9], 1, v[8:9]
	v_or_b32_e32 v8, 1, v8
	s_delay_alu instid0(VALU_DEP_1) | instskip(SKIP_1) | instid1(VALU_DEP_2)
	v_sub_nc_u64_e64 v[10:11], v[8:9], s[44:45]
	v_cmp_gt_u64_e32 vcc_lo, s[44:45], v[8:9]
	v_min_u64 v[8:9], v[8:9], v[10:11]
	s_and_b32 s13, vcc_lo, exec_lo
	s_cselect_b32 s13, s15, s17
	s_cselect_b32 s14, s14, s16
	s_delay_alu instid0(VALU_DEP_1) | instskip(NEXT) | instid1(VALU_DEP_1)
	v_lshlrev_b64_e32 v[8:9], 1, v[8:9]
	v_or_b32_e32 v8, 1, v8
	s_delay_alu instid0(VALU_DEP_1) | instskip(SKIP_2) | instid1(VALU_DEP_1)
	v_cmp_le_u64_e32 vcc_lo, s[44:45], v[8:9]
	v_mov_b32_e32 v9, s13
	v_cndmask_b32_e64 v8, 0, 1, vcc_lo
	v_or_b32_e32 v8, s14, v8
.LBB2_613:                              ;   in Loop: Header=BB2_499 Depth=2
	v_dual_ashrrev_i32 v10, 31, v2 :: v_dual_ashrrev_i32 v11, 31, v88
	s_mov_b32 s17, exec_lo
	s_delay_alu instid0(VALU_DEP_1) | instskip(NEXT) | instid1(VALU_DEP_1)
	v_dual_lshrrev_b32 v10, 27, v10 :: v_dual_lshrrev_b32 v11, 24, v11
	v_dual_add_nc_u32 v2, v2, v10 :: v_dual_add_nc_u32 v10, v88, v11
	s_delay_alu instid0(VALU_DEP_1) | instskip(NEXT) | instid1(VALU_DEP_2)
	v_dual_ashrrev_i32 v11, 5, v2 :: v_dual_lshlrev_b32 v2, 3, v79
	v_and_b32_e32 v89, 0xffffff00, v10
	v_ashrrev_i32_e32 v10, 8, v10
	s_delay_alu instid0(VALU_DEP_3) | instskip(NEXT) | instid1(VALU_DEP_2)
	v_lshl_add_u32 v2, v11, 8, v2
	v_dual_sub_nc_u32 v90, v88, v89 :: v_dual_sub_nc_u32 v10, v10, v11
	s_delay_alu instid0(VALU_DEP_2) | instskip(NEXT) | instid1(VALU_DEP_2)
	v_sub_nc_u32_e32 v92, v88, v2
	v_cmp_lt_i32_e64 s13, 7, v90
	s_delay_alu instid0(VALU_DEP_1) | instskip(NEXT) | instid1(VALU_DEP_3)
	v_add_co_ci_u32_e64 v91, null, 0, v10, s13
	v_cmpx_lt_i32_e32 7, v92
	s_cbranch_execz .LBB2_619
; %bb.614:                              ;   in Loop: Header=BB2_499 Depth=2
	s_trap 2
	ds_load_b64 v[56:57], v2
	v_add_nc_u32_e32 v58, v2, v62
	v_cmp_gt_i32_e64 s14, 0, v63
	s_mov_b32 s78, 0
	v_ashrrev_i32_e32 v59, 31, v58
	s_delay_alu instid0(VALU_DEP_1)
	v_add_nc_u64_e32 v[10:11], v[58:59], v[118:119]
	v_add_nc_u64_e32 v[44:45], v[58:59], v[40:41]
	;; [unrolled: 1-line block ×3, first 2 shown]
	s_wait_dscnt 0x0
	v_add_nc_u64_e32 v[56:57], v[56:57], v[58:59]
	v_dual_mov_b32 v58, v8 :: v_dual_mov_b32 v59, v3
.LBB2_615:                              ;   Parent Loop BB2_47 Depth=1
                                        ;     Parent Loop BB2_499 Depth=2
                                        ; =>    This Loop Header: Depth=3
                                        ;         Child Loop BB2_616 Depth 4
	flat_load_b64 v[60:61], v[10:11] th:TH_LOAD_NT
	flat_load_b64 v[94:95], v[56:57] th:TH_LOAD_NT
	s_mov_b64 s[46:47], 0
	s_mov_b32 s79, -1
	v_mov_b32_e32 v105, v3
	s_wait_loadcnt_dscnt 0x0
	v_add_nc_u64_e32 v[60:61], v[94:95], v[60:61]
	s_delay_alu instid0(VALU_DEP_1) | instskip(SKIP_2) | instid1(VALU_DEP_1)
	v_cmp_gt_i64_e32 vcc_lo, 0, v[60:61]
	v_sub_nc_u64_e32 v[94:95], 0, v[60:61]
	s_and_b32 vcc_lo, s14, vcc_lo
	v_dual_cndmask_b32 v61, v61, v95 :: v_dual_cndmask_b32 v60, v60, v94
	s_delay_alu instid0(VALU_DEP_1) | instskip(NEXT) | instid1(VALU_DEP_1)
	v_mov_b32_e32 v2, v60
	v_mul_u64_e32 v[94:95], v[2:3], v[58:59]
	s_delay_alu instid0(VALU_DEP_1) | instskip(NEXT) | instid1(VALU_DEP_1)
	v_mov_b32_e32 v2, v95
	v_mad_nc_u64_u32 v[94:95], v61, v8, v[2:3]
	s_delay_alu instid0(VALU_DEP_1) | instskip(NEXT) | instid1(VALU_DEP_1)
	v_dual_mov_b32 v2, v94 :: v_dual_mov_b32 v104, v95
	v_mad_nc_u64_u32 v[94:95], v60, v9, v[2:3]
	s_delay_alu instid0(VALU_DEP_2) | instskip(NEXT) | instid1(VALU_DEP_2)
	v_mad_nc_u64_u32 v[104:105], v61, v9, v[104:105]
	v_mov_b32_e32 v2, v95
	s_delay_alu instid0(VALU_DEP_1) | instskip(NEXT) | instid1(VALU_DEP_1)
	v_add_nc_u64_e32 v[94:95], v[104:105], v[2:3]
	v_mul_u64_e32 v[104:105], s[44:45], v[94:95]
	s_delay_alu instid0(VALU_DEP_1) | instskip(SKIP_1) | instid1(VALU_DEP_2)
	v_sub_nc_u64_e32 v[60:61], v[60:61], v[104:105]
	v_mov_b32_e32 v105, s21
	v_cmp_le_u64_e64 s15, s[44:45], v[60:61]
	s_delay_alu instid0(VALU_DEP_1) | instskip(NEXT) | instid1(VALU_DEP_1)
	v_cndmask_b32_e64 v104, 0, 1, s15
	v_add_nc_u64_e32 v[60:61], v[94:95], v[104:105]
	s_delay_alu instid0(VALU_DEP_1) | instskip(NEXT) | instid1(VALU_DEP_1)
	v_sub_nc_u64_e32 v[94:95], 0, v[60:61]
	v_dual_cndmask_b32 v61, v61, v95 :: v_dual_cndmask_b32 v60, v60, v94
.LBB2_616:                              ;   Parent Loop BB2_47 Depth=1
                                        ;     Parent Loop BB2_499 Depth=2
                                        ;       Parent Loop BB2_615 Depth=3
                                        ; =>      This Inner Loop Header: Depth=4
	s_cmp_eq_u32 s46, 1
	s_cselect_b32 vcc_lo, -1, 0
	s_cmp_eq_u32 s46, 0
	s_wait_xcnt 0x0
	v_dual_cndmask_b32 v95, v45, v47 :: v_dual_cndmask_b32 v94, v44, v46
	s_cselect_b32 s15, -1, 0
	s_and_b32 s16, exec_lo, s79
	s_mov_b64 s[46:47], 1
	s_mov_b32 s79, 0
	v_add_nc_u64_e32 v[104:105], 0x100, v[94:95]
	flat_store_b64 v[94:95], v[60:61] th:TH_STORE_NT
	v_dual_cndmask_b32 v47, v47, v105 :: v_dual_cndmask_b32 v46, v46, v104
	v_dual_cndmask_b32 v45, v45, v105, s15 :: v_dual_cndmask_b32 v44, v44, v104, s15
	s_mov_b32 vcc_lo, s16
	s_cbranch_vccnz .LBB2_616
; %bb.617:                              ;   in Loop: Header=BB2_615 Depth=3
	v_dual_sub_nc_u32 v92, v92, v54 :: v_dual_sub_nc_u32 v91, v91, v32
	s_wait_xcnt 0x2
	v_add_nc_u64_e32 v[10:11], v[10:11], v[84:85]
	s_wait_xcnt 0x1
	v_add_nc_u64_e32 v[56:57], v[56:57], v[84:85]
	v_add_nc_u64_e32 v[44:45], v[44:45], v[70:71]
	v_cmp_gt_i32_e32 vcc_lo, 8, v92
	v_add_nc_u64_e32 v[46:47], v[46:47], v[70:71]
	s_or_b32 s78, vcc_lo, s78
	s_wait_xcnt 0x0
	s_and_not1_b32 exec_lo, exec_lo, s78
	s_cbranch_execnz .LBB2_615
; %bb.618:                              ;   in Loop: Header=BB2_499 Depth=2
	s_or_b32 exec_lo, exec_lo, s78
.LBB2_619:                              ;   in Loop: Header=BB2_499 Depth=2
	s_delay_alu instid0(SALU_CYCLE_1) | instskip(SKIP_1) | instid1(VALU_DEP_1)
	s_or_b32 exec_lo, exec_lo, s17
	v_and_b32_e32 v2, 7, v88
	v_cndmask_b32_e64 v10, v90, v2, s13
	s_delay_alu instid0(VALU_DEP_1)
	v_cmp_ne_u32_e32 vcc_lo, 0, v10
	s_and_b32 exec_lo, exec_lo, vcc_lo
	s_cbranch_execz .LBB2_630
; %bb.620:                              ;   in Loop: Header=BB2_499 Depth=2
	v_mov_b64_e32 v[8:9], -1
	s_cmp_lt_i32 s20, 1
	s_cbranch_scc1 .LBB2_625
; %bb.621:                              ;   in Loop: Header=BB2_499 Depth=2
	s_cmp_lg_u32 s20, 1
	s_cbranch_scc1 .LBB2_623
; %bb.622:                              ;   in Loop: Header=BB2_499 Depth=2
	s_mov_b64 s[16:17], 0x8000000000000000
	s_mov_b64 s[14:15], 1
	s_branch .LBB2_624
.LBB2_623:                              ;   in Loop: Header=BB2_499 Depth=2
	s_mov_b64 s[14:15], 3
	s_mov_b64 s[16:17], 0
.LBB2_624:                              ;   in Loop: Header=BB2_499 Depth=2
	v_cmp_lt_u64_e64 s15, s[14:15], s[44:45]
	s_or_b64 s[46:47], s[16:17], 2.0
	s_and_b32 s15, s15, exec_lo
	s_cselect_b32 s15, 0, s44
	s_cselect_b32 s17, s17, s47
	;; [unrolled: 1-line block ×3, first 2 shown]
	s_sub_co_i32 s14, s14, s15
	s_delay_alu instid0(SALU_CYCLE_1) | instskip(NEXT) | instid1(SALU_CYCLE_1)
	s_lshl_b32 s14, s14, 1
	s_or_b32 s20, s14, 1
	s_or_b64 s[14:15], s[16:17], 0x2000000000000000
	v_cmp_lt_u64_e64 s46, s[20:21], s[44:45]
	s_and_b32 s46, s46, exec_lo
	s_cselect_b32 s15, s17, s15
	s_cselect_b32 s14, s16, s14
	s_sub_nc_u64 s[16:17], s[20:21], s[44:45]
	s_delay_alu instid0(SALU_CYCLE_1) | instskip(SKIP_1) | instid1(VALU_DEP_1)
	v_min_u64 v[8:9], s[20:21], s[16:17]
	s_or_b64 s[16:17], s[14:15], 0x1000000000000000
	v_lshlrev_b64_e32 v[8:9], 1, v[8:9]
	s_delay_alu instid0(VALU_DEP_1) | instskip(NEXT) | instid1(VALU_DEP_1)
	v_or_b32_e32 v8, 1, v8
	v_sub_nc_u64_e64 v[44:45], v[8:9], s[44:45]
	v_cmp_gt_u64_e32 vcc_lo, s[44:45], v[8:9]
	s_delay_alu instid0(VALU_DEP_2) | instskip(SKIP_3) | instid1(SALU_CYCLE_1)
	v_min_u64 v[8:9], v[8:9], v[44:45]
	s_and_b32 s20, vcc_lo, exec_lo
	s_cselect_b32 s15, s15, s17
	s_cselect_b32 s14, s14, s16
	s_or_b64 s[16:17], s[14:15], 0x800000000000000
	s_delay_alu instid0(VALU_DEP_1) | instskip(NEXT) | instid1(VALU_DEP_1)
	v_lshlrev_b64_e32 v[8:9], 1, v[8:9]
	v_or_b32_e32 v8, 1, v8
	s_delay_alu instid0(VALU_DEP_1) | instskip(SKIP_1) | instid1(VALU_DEP_2)
	v_sub_nc_u64_e64 v[44:45], v[8:9], s[44:45]
	v_cmp_gt_u64_e32 vcc_lo, s[44:45], v[8:9]
	v_min_u64 v[8:9], v[8:9], v[44:45]
	s_and_b32 s20, vcc_lo, exec_lo
	s_cselect_b32 s15, s15, s17
	s_cselect_b32 s14, s14, s16
	s_delay_alu instid0(SALU_CYCLE_1) | instskip(NEXT) | instid1(VALU_DEP_1)
	s_or_b64 s[16:17], s[14:15], 0x400000000000000
	v_lshlrev_b64_e32 v[8:9], 1, v[8:9]
	s_delay_alu instid0(VALU_DEP_1) | instskip(NEXT) | instid1(VALU_DEP_1)
	v_or_b32_e32 v8, 1, v8
	v_sub_nc_u64_e64 v[44:45], v[8:9], s[44:45]
	v_cmp_gt_u64_e32 vcc_lo, s[44:45], v[8:9]
	s_delay_alu instid0(VALU_DEP_2) | instskip(SKIP_3) | instid1(SALU_CYCLE_1)
	v_min_u64 v[8:9], v[8:9], v[44:45]
	s_and_b32 s20, vcc_lo, exec_lo
	s_cselect_b32 s15, s15, s17
	s_cselect_b32 s14, s14, s16
	s_or_b64 s[16:17], s[14:15], 0x200000000000000
	s_delay_alu instid0(VALU_DEP_1) | instskip(NEXT) | instid1(VALU_DEP_1)
	v_lshlrev_b64_e32 v[8:9], 1, v[8:9]
	v_or_b32_e32 v8, 1, v8
	s_delay_alu instid0(VALU_DEP_1) | instskip(SKIP_1) | instid1(VALU_DEP_2)
	v_sub_nc_u64_e64 v[44:45], v[8:9], s[44:45]
	v_cmp_gt_u64_e32 vcc_lo, s[44:45], v[8:9]
	v_min_u64 v[8:9], v[8:9], v[44:45]
	s_and_b32 s20, vcc_lo, exec_lo
	s_cselect_b32 s15, s15, s17
	s_cselect_b32 s14, s14, s16
	s_delay_alu instid0(SALU_CYCLE_1) | instskip(NEXT) | instid1(VALU_DEP_1)
	;; [unrolled: 23-line block ×29, first 2 shown]
	s_or_b64 s[16:17], s[14:15], 4
	v_lshlrev_b64_e32 v[8:9], 1, v[8:9]
	s_delay_alu instid0(VALU_DEP_1) | instskip(NEXT) | instid1(VALU_DEP_1)
	v_or_b32_e32 v8, 1, v8
	v_sub_nc_u64_e64 v[44:45], v[8:9], s[44:45]
	v_cmp_gt_u64_e32 vcc_lo, s[44:45], v[8:9]
	s_delay_alu instid0(VALU_DEP_2) | instskip(SKIP_3) | instid1(SALU_CYCLE_1)
	v_min_u64 v[8:9], v[8:9], v[44:45]
	s_and_b32 s20, vcc_lo, exec_lo
	s_cselect_b32 s15, s15, s17
	s_cselect_b32 s14, s14, s16
	s_or_b64 s[16:17], s[14:15], 2
	s_delay_alu instid0(VALU_DEP_1) | instskip(NEXT) | instid1(VALU_DEP_1)
	v_lshlrev_b64_e32 v[8:9], 1, v[8:9]
	v_or_b32_e32 v8, 1, v8
	s_delay_alu instid0(VALU_DEP_1) | instskip(SKIP_1) | instid1(VALU_DEP_2)
	v_sub_nc_u64_e64 v[44:45], v[8:9], s[44:45]
	v_cmp_gt_u64_e32 vcc_lo, s[44:45], v[8:9]
	v_min_u64 v[8:9], v[8:9], v[44:45]
	s_and_b32 s20, vcc_lo, exec_lo
	s_cselect_b32 s15, s15, s17
	s_cselect_b32 s14, s14, s16
	s_delay_alu instid0(VALU_DEP_1) | instskip(NEXT) | instid1(VALU_DEP_1)
	v_lshlrev_b64_e32 v[8:9], 1, v[8:9]
	v_or_b32_e32 v8, 1, v8
	s_delay_alu instid0(VALU_DEP_1) | instskip(SKIP_2) | instid1(VALU_DEP_1)
	v_cmp_le_u64_e32 vcc_lo, s[44:45], v[8:9]
	v_mov_b32_e32 v9, s15
	v_cndmask_b32_e64 v8, 0, 1, vcc_lo
	v_or_b32_e32 v8, s14, v8
.LBB2_625:                              ;   in Loop: Header=BB2_499 Depth=2
	v_cmp_lt_i32_e32 vcc_lo, 0, v91
	v_cndmask_b32_e32 v11, 0, v32, vcc_lo
	s_delay_alu instid0(VALU_DEP_1) | instskip(NEXT) | instid1(VALU_DEP_1)
	v_sub_nc_u32_e32 v11, v11, v91
	v_lshl_add_u32 v11, v11, 5, v79
	s_delay_alu instid0(VALU_DEP_1) | instskip(NEXT) | instid1(VALU_DEP_1)
	v_ashrrev_i32_e32 v44, 31, v11
	v_lshrrev_b32_e32 v44, 27, v44
	s_delay_alu instid0(VALU_DEP_1) | instskip(NEXT) | instid1(VALU_DEP_1)
	v_add_nc_u32_e32 v44, v11, v44
	v_and_b32_e32 v45, 0x1fffffe0, v44
	s_delay_alu instid0(VALU_DEP_1) | instskip(NEXT) | instid1(VALU_DEP_1)
	v_dual_lshlrev_b32 v44, 3, v44 :: v_dual_sub_nc_u32 v11, v11, v45
	v_and_b32_e32 v44, 0xffffff00, v44
	s_delay_alu instid0(VALU_DEP_1) | instskip(NEXT) | instid1(VALU_DEP_1)
	v_lshl_add_u32 v11, v11, 3, v44
	v_sub_nc_u32_e32 v79, v10, v11
	s_delay_alu instid0(VALU_DEP_1)
	v_cmp_lt_i32_e32 vcc_lo, 7, v79
	s_and_b32 exec_lo, exec_lo, vcc_lo
	s_cbranch_execz .LBB2_630
; %bb.626:                              ;   in Loop: Header=BB2_499 Depth=2
	v_sub_nc_u32_e32 v2, v90, v2
	s_trap 2
	v_dual_add_nc_u32 v10, v89, v62 :: v_dual_mov_b32 v58, v8
	s_mov_b32 s20, 0
	ds_load_b64 v[44:45], v2
	v_dual_cndmask_b32 v2, 0, v2, s13 :: v_dual_mov_b32 v59, v3
	v_cmp_gt_i32_e64 s13, 0, v63
	s_delay_alu instid0(VALU_DEP_2) | instskip(NEXT) | instid1(VALU_DEP_1)
	v_add3_u32 v56, v10, v2, v11
	v_ashrrev_i32_e32 v57, 31, v56
	s_delay_alu instid0(VALU_DEP_1)
	v_add_nc_u64_e32 v[10:11], v[56:57], v[118:119]
	v_add_nc_u64_e32 v[46:47], v[56:57], v[40:41]
	s_wait_dscnt 0x0
	v_add_nc_u64_e32 v[44:45], v[44:45], v[56:57]
	v_add_nc_u64_e32 v[56:57], v[56:57], v[42:43]
.LBB2_627:                              ;   Parent Loop BB2_47 Depth=1
                                        ;     Parent Loop BB2_499 Depth=2
                                        ; =>    This Loop Header: Depth=3
                                        ;         Child Loop BB2_628 Depth 4
	flat_load_b64 v[60:61], v[10:11] th:TH_LOAD_NT
	flat_load_b64 v[62:63], v[44:45] th:TH_LOAD_NT
	s_mov_b64 s[16:17], 0
	s_mov_b32 s46, -1
	v_mov_b32_e32 v89, v3
	s_wait_loadcnt_dscnt 0x0
	v_add_nc_u64_e32 v[60:61], v[62:63], v[60:61]
	s_delay_alu instid0(VALU_DEP_1) | instskip(SKIP_2) | instid1(VALU_DEP_1)
	v_cmp_gt_i64_e32 vcc_lo, 0, v[60:61]
	v_sub_nc_u64_e32 v[62:63], 0, v[60:61]
	s_and_b32 vcc_lo, s13, vcc_lo
	v_dual_cndmask_b32 v61, v61, v63 :: v_dual_cndmask_b32 v60, v60, v62
	s_delay_alu instid0(VALU_DEP_1) | instskip(NEXT) | instid1(VALU_DEP_1)
	v_mov_b32_e32 v2, v60
	v_mul_u64_e32 v[62:63], v[2:3], v[58:59]
	s_delay_alu instid0(VALU_DEP_1) | instskip(NEXT) | instid1(VALU_DEP_1)
	v_mov_b32_e32 v2, v63
	v_mad_nc_u64_u32 v[62:63], v61, v8, v[2:3]
	s_delay_alu instid0(VALU_DEP_1) | instskip(NEXT) | instid1(VALU_DEP_1)
	v_dual_mov_b32 v2, v62 :: v_dual_mov_b32 v88, v63
	v_mad_nc_u64_u32 v[62:63], v60, v9, v[2:3]
	s_delay_alu instid0(VALU_DEP_2) | instskip(NEXT) | instid1(VALU_DEP_2)
	v_mad_nc_u64_u32 v[88:89], v61, v9, v[88:89]
	v_mov_b32_e32 v2, v63
	s_delay_alu instid0(VALU_DEP_1) | instskip(NEXT) | instid1(VALU_DEP_1)
	v_add_nc_u64_e32 v[62:63], v[88:89], v[2:3]
	v_mul_u64_e32 v[88:89], s[44:45], v[62:63]
	s_delay_alu instid0(VALU_DEP_1) | instskip(SKIP_1) | instid1(VALU_DEP_2)
	v_sub_nc_u64_e32 v[60:61], v[60:61], v[88:89]
	v_mov_b32_e32 v89, s21
	v_cmp_le_u64_e64 s14, s[44:45], v[60:61]
	s_delay_alu instid0(VALU_DEP_1) | instskip(NEXT) | instid1(VALU_DEP_1)
	v_cndmask_b32_e64 v88, 0, 1, s14
	v_add_nc_u64_e32 v[60:61], v[62:63], v[88:89]
	s_delay_alu instid0(VALU_DEP_1) | instskip(NEXT) | instid1(VALU_DEP_1)
	v_sub_nc_u64_e32 v[62:63], 0, v[60:61]
	v_dual_cndmask_b32 v61, v61, v63 :: v_dual_cndmask_b32 v60, v60, v62
.LBB2_628:                              ;   Parent Loop BB2_47 Depth=1
                                        ;     Parent Loop BB2_499 Depth=2
                                        ;       Parent Loop BB2_627 Depth=3
                                        ; =>      This Inner Loop Header: Depth=4
	s_cmp_eq_u32 s16, 1
	s_cselect_b32 vcc_lo, -1, 0
	s_cmp_eq_u32 s16, 0
	s_wait_xcnt 0x0
	v_dual_cndmask_b32 v63, v47, v57 :: v_dual_cndmask_b32 v62, v46, v56
	s_cselect_b32 s14, -1, 0
	s_and_b32 s15, exec_lo, s46
	s_mov_b64 s[16:17], 1
	s_mov_b32 s46, 0
	v_add_nc_u64_e32 v[88:89], 0x100, v[62:63]
	flat_store_b64 v[62:63], v[60:61] th:TH_STORE_NT
	v_dual_cndmask_b32 v57, v57, v89 :: v_dual_cndmask_b32 v56, v56, v88
	v_dual_cndmask_b32 v47, v47, v89, s14 :: v_dual_cndmask_b32 v46, v46, v88, s14
	s_mov_b32 vcc_lo, s15
	s_cbranch_vccnz .LBB2_628
; %bb.629:                              ;   in Loop: Header=BB2_627 Depth=3
	v_sub_nc_u32_e32 v79, v79, v64
	s_wait_xcnt 0x2
	v_add_nc_u64_e32 v[10:11], v[10:11], v[86:87]
	s_wait_xcnt 0x1
	v_add_nc_u64_e32 v[44:45], v[44:45], v[86:87]
	v_add_nc_u64_e32 v[46:47], v[46:47], v[80:81]
	;; [unrolled: 1-line block ×3, first 2 shown]
	v_cmp_gt_i32_e32 vcc_lo, 8, v79
	s_or_b32 s20, vcc_lo, s20
	s_wait_xcnt 0x0
	s_and_not1_b32 exec_lo, exec_lo, s20
	s_cbranch_execnz .LBB2_627
.LBB2_630:                              ;   in Loop: Header=BB2_499 Depth=2
	s_or_b32 exec_lo, exec_lo, s77
	s_mov_b32 s13, 0
.LBB2_631:                              ;   in Loop: Header=BB2_499 Depth=2
	s_delay_alu instid0(SALU_CYCLE_1)
	s_and_b32 vcc_lo, exec_lo, s13
	s_cbranch_vccz .LBB2_641
; %bb.632:                              ;   in Loop: Header=BB2_499 Depth=2
	s_mov_b32 s13, -1
	s_and_saveexec_b32 s14, s11
	s_cbranch_execz .LBB2_634
; %bb.633:                              ;   in Loop: Header=BB2_499 Depth=2
	ds_load_b32 v2, v0 offset:720
	s_wait_dscnt 0x0
	v_and_b32_e32 v2, 15, v2
	s_delay_alu instid0(VALU_DEP_1)
	v_cmp_eq_u32_e32 vcc_lo, 0, v2
	s_or_not1_b32 s13, vcc_lo, exec_lo
.LBB2_634:                              ;   in Loop: Header=BB2_499 Depth=2
	s_or_b32 exec_lo, exec_lo, s14
	s_and_saveexec_b32 s14, s7
	s_cbranch_execz .LBB2_636
; %bb.635:                              ;   in Loop: Header=BB2_499 Depth=2
	ds_load_b32 v2, v0 offset:784
	s_wait_dscnt 0x0
	v_and_b32_e32 v2, 15, v2
	s_delay_alu instid0(VALU_DEP_1) | instskip(SKIP_3) | instid1(SALU_CYCLE_1)
	v_cmp_eq_u32_e32 vcc_lo, 0, v2
	s_and_b32 s15, s13, vcc_lo
	s_and_not1_b32 s13, s13, exec_lo
	s_and_b32 s15, s15, exec_lo
	s_or_b32 s13, s13, s15
.LBB2_636:                              ;   in Loop: Header=BB2_499 Depth=2
	s_or_b32 exec_lo, exec_lo, s14
	s_xor_b32 s13, s13, -1
	v_alignbit_b32 v56, v42, v42, 1
	v_cndmask_b32_e64 v2, 0, 1, s13
	s_mov_b32 s13, -1
	s_delay_alu instid0(VALU_DEP_1)
	v_cmp_ne_u32_e32 vcc_lo, 0, v2
	s_cbranch_vccz .LBB2_642
; %bb.637:                              ;   in Loop: Header=BB2_499 Depth=2
	v_readfirstlane_b32 s13, v56
	s_mov_b32 s44, -1
	s_and_b32 s20, s13, 0x7fffffff
	s_delay_alu instid0(SALU_CYCLE_1)
	s_mov_b64 s[16:17], s[20:21]
	v_mov_b32_e32 v57, 0
	s_cbranch_execnz .LBB2_643
.LBB2_638:                              ;   in Loop: Header=BB2_499 Depth=2
	v_readfirstlane_b32 s45, v56
	v_mov_b64_e32 v[8:9], -1
	s_and_b32 s20, s45, 0x7fffffff
	s_delay_alu instid0(SALU_CYCLE_1)
	s_cmp_lt_i32 s20, 1
	s_cbranch_scc1 .LBB2_646
; %bb.639:                              ;   in Loop: Header=BB2_499 Depth=2
	s_cmp_lg_u32 s20, 1
	s_cbranch_scc1 .LBB2_644
; %bb.640:                              ;   in Loop: Header=BB2_499 Depth=2
	s_mov_b64 s[16:17], 0x8000000000000000
	s_mov_b64 s[14:15], 1
	s_branch .LBB2_645
.LBB2_641:                              ;   in Loop: Header=BB2_499 Depth=2
	v_cmp_lt_i32_e64 s13, 0, v113
	s_and_saveexec_b32 s14, s2
	s_cbranch_execnz .LBB2_683
	s_branch .LBB2_578
.LBB2_642:                              ;   in Loop: Header=BB2_499 Depth=2
	s_mov_b32 s44, 0
                                        ; implicit-def: $sgpr16_sgpr17
	v_mov_b32_e32 v57, 0
	s_and_not1_b32 vcc_lo, exec_lo, s13
	s_cbranch_vccz .LBB2_638
.LBB2_643:                              ;   in Loop: Header=BB2_499 Depth=2
	v_dual_mov_b32 v2, v0 :: v_dual_mov_b32 v58, v73
	s_and_saveexec_b32 s46, s44
	s_cbranch_execnz .LBB2_664
	s_branch .LBB2_682
.LBB2_644:                              ;   in Loop: Header=BB2_499 Depth=2
	s_mov_b64 s[14:15], 3
	s_mov_b64 s[16:17], 0
.LBB2_645:                              ;   in Loop: Header=BB2_499 Depth=2
	v_cmp_lt_u64_e64 s13, s[14:15], s[20:21]
	s_or_b64 s[46:47], s[16:17], 2.0
	s_mov_b32 s15, s21
	s_and_b32 s13, s13, exec_lo
	s_cselect_b32 s13, 0, s20
	s_cselect_b32 s17, s17, s47
	s_cselect_b32 s16, s16, s46
	s_sub_co_i32 s13, s14, s13
	s_or_b64 s[46:47], s[16:17], 0x2000000000000000
	s_lshl_b32 s13, s13, 1
	s_delay_alu instid0(SALU_CYCLE_1) | instskip(NEXT) | instid1(SALU_CYCLE_1)
	s_or_b32 s14, s13, 1
	v_cmp_lt_u64_e64 s13, s[14:15], s[20:21]
	s_and_b32 s13, s13, exec_lo
	s_cselect_b32 s17, s17, s47
	s_cselect_b32 s16, s16, s46
	s_sub_nc_u64 s[46:47], s[14:15], s[20:21]
	s_delay_alu instid0(SALU_CYCLE_1) | instskip(SKIP_1) | instid1(VALU_DEP_1)
	v_min_u64 v[8:9], s[14:15], s[46:47]
	s_or_b64 s[14:15], s[16:17], 0x1000000000000000
	v_lshlrev_b64_e32 v[8:9], 1, v[8:9]
	s_delay_alu instid0(VALU_DEP_1) | instskip(NEXT) | instid1(VALU_DEP_1)
	v_or_b32_e32 v8, 1, v8
	v_sub_nc_u64_e64 v[10:11], v[8:9], s[20:21]
	v_cmp_gt_u64_e32 vcc_lo, s[20:21], v[8:9]
	s_delay_alu instid0(VALU_DEP_2) | instskip(SKIP_3) | instid1(SALU_CYCLE_1)
	v_min_u64 v[8:9], v[8:9], v[10:11]
	s_and_b32 s13, vcc_lo, exec_lo
	s_cselect_b32 s15, s17, s15
	s_cselect_b32 s14, s16, s14
	s_or_b64 s[16:17], s[14:15], 0x800000000000000
	s_delay_alu instid0(VALU_DEP_1) | instskip(NEXT) | instid1(VALU_DEP_1)
	v_lshlrev_b64_e32 v[8:9], 1, v[8:9]
	v_or_b32_e32 v8, 1, v8
	s_delay_alu instid0(VALU_DEP_1) | instskip(SKIP_1) | instid1(VALU_DEP_2)
	v_sub_nc_u64_e64 v[10:11], v[8:9], s[20:21]
	v_cmp_gt_u64_e32 vcc_lo, s[20:21], v[8:9]
	v_min_u64 v[8:9], v[8:9], v[10:11]
	s_and_b32 s13, vcc_lo, exec_lo
	s_cselect_b32 s15, s15, s17
	s_cselect_b32 s14, s14, s16
	s_delay_alu instid0(SALU_CYCLE_1) | instskip(NEXT) | instid1(VALU_DEP_1)
	s_or_b64 s[16:17], s[14:15], 0x400000000000000
	v_lshlrev_b64_e32 v[8:9], 1, v[8:9]
	s_delay_alu instid0(VALU_DEP_1) | instskip(NEXT) | instid1(VALU_DEP_1)
	v_or_b32_e32 v8, 1, v8
	v_sub_nc_u64_e64 v[10:11], v[8:9], s[20:21]
	v_cmp_gt_u64_e32 vcc_lo, s[20:21], v[8:9]
	s_delay_alu instid0(VALU_DEP_2) | instskip(SKIP_3) | instid1(SALU_CYCLE_1)
	v_min_u64 v[8:9], v[8:9], v[10:11]
	s_and_b32 s13, vcc_lo, exec_lo
	s_cselect_b32 s15, s15, s17
	s_cselect_b32 s14, s14, s16
	s_or_b64 s[16:17], s[14:15], 0x200000000000000
	s_delay_alu instid0(VALU_DEP_1) | instskip(NEXT) | instid1(VALU_DEP_1)
	v_lshlrev_b64_e32 v[8:9], 1, v[8:9]
	v_or_b32_e32 v8, 1, v8
	s_delay_alu instid0(VALU_DEP_1) | instskip(SKIP_1) | instid1(VALU_DEP_2)
	v_sub_nc_u64_e64 v[10:11], v[8:9], s[20:21]
	v_cmp_gt_u64_e32 vcc_lo, s[20:21], v[8:9]
	v_min_u64 v[8:9], v[8:9], v[10:11]
	s_and_b32 s13, vcc_lo, exec_lo
	s_cselect_b32 s15, s15, s17
	s_cselect_b32 s14, s14, s16
	s_delay_alu instid0(SALU_CYCLE_1) | instskip(NEXT) | instid1(VALU_DEP_1)
	;; [unrolled: 23-line block ×29, first 2 shown]
	s_or_b64 s[16:17], s[14:15], 4
	v_lshlrev_b64_e32 v[8:9], 1, v[8:9]
	s_delay_alu instid0(VALU_DEP_1) | instskip(NEXT) | instid1(VALU_DEP_1)
	v_or_b32_e32 v8, 1, v8
	v_sub_nc_u64_e64 v[10:11], v[8:9], s[20:21]
	v_cmp_gt_u64_e32 vcc_lo, s[20:21], v[8:9]
	s_delay_alu instid0(VALU_DEP_2) | instskip(SKIP_3) | instid1(SALU_CYCLE_1)
	v_min_u64 v[8:9], v[8:9], v[10:11]
	s_and_b32 s13, vcc_lo, exec_lo
	s_cselect_b32 s15, s15, s17
	s_cselect_b32 s14, s14, s16
	s_or_b64 s[16:17], s[14:15], 2
	s_delay_alu instid0(VALU_DEP_1) | instskip(NEXT) | instid1(VALU_DEP_1)
	v_lshlrev_b64_e32 v[8:9], 1, v[8:9]
	v_or_b32_e32 v8, 1, v8
	s_delay_alu instid0(VALU_DEP_1) | instskip(SKIP_1) | instid1(VALU_DEP_2)
	v_sub_nc_u64_e64 v[10:11], v[8:9], s[20:21]
	v_cmp_gt_u64_e32 vcc_lo, s[20:21], v[8:9]
	v_min_u64 v[8:9], v[8:9], v[10:11]
	s_and_b32 s13, vcc_lo, exec_lo
	s_cselect_b32 s13, s15, s17
	s_cselect_b32 s14, s14, s16
	s_delay_alu instid0(VALU_DEP_1) | instskip(NEXT) | instid1(VALU_DEP_1)
	v_lshlrev_b64_e32 v[8:9], 1, v[8:9]
	v_or_b32_e32 v8, 1, v8
	s_delay_alu instid0(VALU_DEP_1) | instskip(SKIP_2) | instid1(VALU_DEP_1)
	v_cmp_le_u64_e32 vcc_lo, s[20:21], v[8:9]
	v_mov_b32_e32 v9, s13
	v_cndmask_b32_e64 v2, 0, 1, vcc_lo
	v_or_b32_e32 v8, s14, v2
.LBB2_646:                              ;   in Loop: Header=BB2_499 Depth=2
	v_ashrrev_i32_e32 v2, 31, v115
	s_mov_b32 s16, exec_lo
	s_delay_alu instid0(VALU_DEP_1) | instskip(NEXT) | instid1(VALU_DEP_1)
	v_dual_sub_nc_u32 v57, v115, v36 :: v_dual_lshrrev_b32 v2, 23, v2
	v_add_nc_u32_e32 v2, v115, v2
	s_delay_alu instid0(VALU_DEP_1) | instskip(NEXT) | instid1(VALU_DEP_1)
	v_and_b32_e32 v56, 0xfffffe00, v2
	v_dual_ashrrev_i32 v2, 9, v2 :: v_dual_sub_nc_u32 v60, v115, v56
	s_delay_alu instid0(VALU_DEP_1) | instskip(NEXT) | instid1(VALU_DEP_2)
	v_sub_nc_u32_e32 v2, v2, v74
	v_cmp_lt_i32_e32 vcc_lo, 15, v60
	s_delay_alu instid0(VALU_DEP_2)
	v_add_co_ci_u32_e64 v61, null, 0, v2, vcc_lo
	v_cmpx_lt_i32_e32 15, v57
	s_cbranch_execz .LBB2_650
; %bb.647:                              ;   in Loop: Header=BB2_499 Depth=2
	s_trap 2
	ds_load_b64 v[42:43], v2
	v_add_nc_u64_e32 v[10:11], v[118:119], v[36:37]
	v_add_nc_u64_e32 v[44:45], v[40:41], v[36:37]
	v_dual_mov_b32 v46, v8 :: v_dual_mov_b32 v47, v3
	s_cmp_lt_i32 s45, 0
	s_mov_b32 s17, 0
	s_cselect_b32 s46, -1, 0
	s_wait_dscnt 0x0
	v_add_nc_u64_e32 v[42:43], v[42:43], v[36:37]
.LBB2_648:                              ;   Parent Loop BB2_47 Depth=1
                                        ;     Parent Loop BB2_499 Depth=2
                                        ; =>    This Inner Loop Header: Depth=3
	global_load_b128 v[88:91], v[10:11], off th:TH_LOAD_NT
	global_load_b128 v[92:95], v[42:43], off th:TH_LOAD_NT
	s_wait_xcnt 0x1
	v_add_nc_u64_e32 v[10:11], v[10:11], v[52:53]
	s_wait_xcnt 0x0
	v_add_nc_u64_e32 v[42:43], v[42:43], v[52:53]
	v_dual_mov_b32 v105, s21 :: v_dual_sub_nc_u32 v61, v61, v32
	s_wait_loadcnt 0x0
	v_add_nc_u64_e32 v[58:59], v[92:93], v[88:89]
	v_mov_b32_e32 v89, v3
	v_add_nc_u64_e32 v[90:91], v[94:95], v[90:91]
	s_delay_alu instid0(VALU_DEP_3) | instskip(SKIP_1) | instid1(VALU_DEP_3)
	v_cmp_gt_i64_e64 s13, 0, v[58:59]
	v_sub_nc_u64_e32 v[62:63], 0, v[58:59]
	v_cmp_gt_i64_e64 s14, 0, v[90:91]
	v_sub_nc_u64_e32 v[92:93], 0, v[90:91]
	s_and_b32 s13, s46, s13
	s_delay_alu instid0(SALU_CYCLE_1) | instskip(SKIP_1) | instid1(VALU_DEP_1)
	v_dual_cndmask_b32 v59, v59, v63, s13 :: v_dual_cndmask_b32 v58, v58, v62, s13
	s_and_b32 s14, s46, s14
	v_mov_b32_e32 v2, v58
	s_delay_alu instid0(VALU_DEP_1) | instskip(NEXT) | instid1(VALU_DEP_1)
	v_mul_u64_e32 v[62:63], v[2:3], v[46:47]
	v_mov_b32_e32 v2, v63
	s_delay_alu instid0(VALU_DEP_1) | instskip(SKIP_1) | instid1(VALU_DEP_2)
	v_mad_nc_u64_u32 v[62:63], v59, v8, v[2:3]
	v_cndmask_b32_e64 v91, v91, v93, s14
	v_dual_mov_b32 v93, v3 :: v_dual_mov_b32 v2, v62
	s_delay_alu instid0(VALU_DEP_3) | instskip(NEXT) | instid1(VALU_DEP_2)
	v_mov_b32_e32 v88, v63
	v_mad_nc_u64_u32 v[62:63], v58, v9, v[2:3]
	s_delay_alu instid0(VALU_DEP_2) | instskip(NEXT) | instid1(VALU_DEP_2)
	v_mad_nc_u64_u32 v[88:89], v59, v9, v[88:89]
	v_dual_cndmask_b32 v90, v90, v92, s14 :: v_dual_mov_b32 v2, v63
	s_delay_alu instid0(VALU_DEP_1) | instskip(NEXT) | instid1(VALU_DEP_2)
	v_add_nc_u64_e32 v[62:63], v[88:89], v[2:3]
	v_mov_b32_e32 v2, v90
	s_delay_alu instid0(VALU_DEP_1) | instskip(NEXT) | instid1(VALU_DEP_1)
	v_mul_u64_e32 v[88:89], v[2:3], v[46:47]
	v_mov_b32_e32 v2, v89
	s_delay_alu instid0(VALU_DEP_1) | instskip(NEXT) | instid1(VALU_DEP_1)
	v_mad_nc_u64_u32 v[88:89], v91, v8, v[2:3]
	v_dual_mov_b32 v2, v88 :: v_dual_mov_b32 v92, v89
	s_delay_alu instid0(VALU_DEP_1) | instskip(NEXT) | instid1(VALU_DEP_2)
	v_mad_nc_u64_u32 v[88:89], v90, v9, v[2:3]
	v_mad_nc_u64_u32 v[92:93], v91, v9, v[92:93]
	s_delay_alu instid0(VALU_DEP_2) | instskip(NEXT) | instid1(VALU_DEP_1)
	v_mov_b32_e32 v2, v89
	v_add_nc_u64_e32 v[88:89], v[92:93], v[2:3]
	v_mul_u64_e32 v[92:93], s[20:21], v[62:63]
	s_delay_alu instid0(VALU_DEP_2) | instskip(NEXT) | instid1(VALU_DEP_2)
	v_mul_u64_e32 v[94:95], s[20:21], v[88:89]
	v_sub_nc_u64_e32 v[58:59], v[58:59], v[92:93]
	v_mov_b32_e32 v93, s21
	s_delay_alu instid0(VALU_DEP_3) | instskip(NEXT) | instid1(VALU_DEP_3)
	v_sub_nc_u64_e32 v[90:91], v[90:91], v[94:95]
	v_cmp_le_u64_e64 s15, s[20:21], v[58:59]
	s_delay_alu instid0(VALU_DEP_1) | instskip(NEXT) | instid1(VALU_DEP_3)
	v_cndmask_b32_e64 v104, 0, 1, s15
	v_cmp_le_u64_e64 s15, s[20:21], v[90:91]
	s_delay_alu instid0(VALU_DEP_2) | instskip(NEXT) | instid1(VALU_DEP_2)
	v_add_nc_u64_e32 v[58:59], v[62:63], v[104:105]
	v_cndmask_b32_e64 v92, 0, 1, s15
	s_delay_alu instid0(VALU_DEP_1) | instskip(NEXT) | instid1(VALU_DEP_3)
	v_add_nc_u64_e32 v[62:63], v[88:89], v[92:93]
	v_sub_nc_u64_e32 v[88:89], 0, v[58:59]
	v_sub_nc_u32_e32 v57, v57, v52
	s_delay_alu instid0(VALU_DEP_3) | instskip(NEXT) | instid1(VALU_DEP_3)
	v_sub_nc_u64_e32 v[90:91], 0, v[62:63]
	v_dual_cndmask_b32 v89, v59, v89, s13 :: v_dual_cndmask_b32 v88, v58, v88, s13
	s_delay_alu instid0(VALU_DEP_3) | instskip(NEXT) | instid1(VALU_DEP_3)
	v_cmp_gt_i32_e64 s13, 16, v57
	v_dual_cndmask_b32 v91, v63, v91, s14 :: v_dual_cndmask_b32 v90, v62, v90, s14
	s_or_b32 s17, s13, s17
	global_store_b128 v[44:45], v[88:91], off th:TH_STORE_NT
	s_wait_xcnt 0x0
	v_add_nc_u64_e32 v[44:45], v[44:45], v[52:53]
	s_and_not1_b32 exec_lo, exec_lo, s17
	s_cbranch_execnz .LBB2_648
; %bb.649:                              ;   in Loop: Header=BB2_499 Depth=2
	s_or_b32 exec_lo, exec_lo, s17
.LBB2_650:                              ;   in Loop: Header=BB2_499 Depth=2
	s_delay_alu instid0(SALU_CYCLE_1) | instskip(SKIP_2) | instid1(VALU_DEP_1)
	s_or_b32 exec_lo, exec_lo, s16
	v_and_b32_e32 v10, 8, v115
	s_mov_b32 s46, exec_lo
                                        ; implicit-def: $vgpr115
                                        ; implicit-def: $vgpr57
                                        ; implicit-def: $vgpr2
                                        ; implicit-def: $vgpr58
	v_cndmask_b32_e32 v59, v60, v10, vcc_lo
	s_delay_alu instid0(VALU_DEP_1)
	v_cmpx_ne_u32_e32 0, v59
	s_cbranch_execz .LBB2_663
; %bb.651:                              ;   in Loop: Header=BB2_499 Depth=2
	v_mov_b64_e32 v[8:9], -1
	s_cmp_lt_i32 s20, 1
	s_cbranch_scc1 .LBB2_656
; %bb.652:                              ;   in Loop: Header=BB2_499 Depth=2
	s_cmp_lg_u32 s20, 1
	s_cbranch_scc1 .LBB2_654
; %bb.653:                              ;   in Loop: Header=BB2_499 Depth=2
	s_mov_b64 s[16:17], 0x8000000000000000
	s_mov_b64 s[14:15], 1
	s_branch .LBB2_655
.LBB2_654:                              ;   in Loop: Header=BB2_499 Depth=2
	s_mov_b64 s[14:15], 3
	s_mov_b64 s[16:17], 0
.LBB2_655:                              ;   in Loop: Header=BB2_499 Depth=2
	v_cmp_lt_u64_e64 s13, s[14:15], s[20:21]
	s_or_b64 s[78:79], s[16:17], 2.0
	s_mov_b32 s15, s21
	s_and_b32 s13, s13, exec_lo
	s_cselect_b32 s13, 0, s20
	s_cselect_b32 s17, s17, s79
	s_cselect_b32 s16, s16, s78
	s_sub_co_i32 s13, s14, s13
	s_or_b64 s[78:79], s[16:17], 0x2000000000000000
	s_lshl_b32 s13, s13, 1
	s_delay_alu instid0(SALU_CYCLE_1) | instskip(NEXT) | instid1(SALU_CYCLE_1)
	s_or_b32 s14, s13, 1
	v_cmp_lt_u64_e64 s13, s[14:15], s[20:21]
	s_and_b32 s13, s13, exec_lo
	s_cselect_b32 s17, s17, s79
	s_cselect_b32 s16, s16, s78
	s_sub_nc_u64 s[78:79], s[14:15], s[20:21]
	s_delay_alu instid0(SALU_CYCLE_1) | instskip(SKIP_1) | instid1(VALU_DEP_1)
	v_min_u64 v[8:9], s[14:15], s[78:79]
	s_or_b64 s[14:15], s[16:17], 0x1000000000000000
	v_lshlrev_b64_e32 v[8:9], 1, v[8:9]
	s_delay_alu instid0(VALU_DEP_1) | instskip(NEXT) | instid1(VALU_DEP_1)
	v_or_b32_e32 v8, 1, v8
	v_sub_nc_u64_e64 v[42:43], v[8:9], s[20:21]
	v_cmp_gt_u64_e64 s13, s[20:21], v[8:9]
	s_delay_alu instid0(VALU_DEP_2) | instskip(SKIP_3) | instid1(SALU_CYCLE_1)
	v_min_u64 v[8:9], v[8:9], v[42:43]
	s_and_b32 s13, s13, exec_lo
	s_cselect_b32 s15, s17, s15
	s_cselect_b32 s14, s16, s14
	s_or_b64 s[16:17], s[14:15], 0x800000000000000
	s_delay_alu instid0(VALU_DEP_1) | instskip(NEXT) | instid1(VALU_DEP_1)
	v_lshlrev_b64_e32 v[8:9], 1, v[8:9]
	v_or_b32_e32 v8, 1, v8
	s_delay_alu instid0(VALU_DEP_1) | instskip(SKIP_1) | instid1(VALU_DEP_2)
	v_sub_nc_u64_e64 v[42:43], v[8:9], s[20:21]
	v_cmp_gt_u64_e64 s13, s[20:21], v[8:9]
	v_min_u64 v[8:9], v[8:9], v[42:43]
	s_and_b32 s13, s13, exec_lo
	s_cselect_b32 s15, s15, s17
	s_cselect_b32 s14, s14, s16
	s_delay_alu instid0(SALU_CYCLE_1) | instskip(NEXT) | instid1(VALU_DEP_1)
	s_or_b64 s[16:17], s[14:15], 0x400000000000000
	v_lshlrev_b64_e32 v[8:9], 1, v[8:9]
	s_delay_alu instid0(VALU_DEP_1) | instskip(NEXT) | instid1(VALU_DEP_1)
	v_or_b32_e32 v8, 1, v8
	v_sub_nc_u64_e64 v[42:43], v[8:9], s[20:21]
	v_cmp_gt_u64_e64 s13, s[20:21], v[8:9]
	s_delay_alu instid0(VALU_DEP_2) | instskip(SKIP_3) | instid1(SALU_CYCLE_1)
	v_min_u64 v[8:9], v[8:9], v[42:43]
	s_and_b32 s13, s13, exec_lo
	s_cselect_b32 s15, s15, s17
	s_cselect_b32 s14, s14, s16
	s_or_b64 s[16:17], s[14:15], 0x200000000000000
	s_delay_alu instid0(VALU_DEP_1) | instskip(NEXT) | instid1(VALU_DEP_1)
	v_lshlrev_b64_e32 v[8:9], 1, v[8:9]
	v_or_b32_e32 v8, 1, v8
	s_delay_alu instid0(VALU_DEP_1) | instskip(SKIP_1) | instid1(VALU_DEP_2)
	v_sub_nc_u64_e64 v[42:43], v[8:9], s[20:21]
	v_cmp_gt_u64_e64 s13, s[20:21], v[8:9]
	v_min_u64 v[8:9], v[8:9], v[42:43]
	s_and_b32 s13, s13, exec_lo
	s_cselect_b32 s15, s15, s17
	s_cselect_b32 s14, s14, s16
	s_delay_alu instid0(SALU_CYCLE_1) | instskip(NEXT) | instid1(VALU_DEP_1)
	;; [unrolled: 23-line block ×29, first 2 shown]
	s_or_b64 s[16:17], s[14:15], 4
	v_lshlrev_b64_e32 v[8:9], 1, v[8:9]
	s_delay_alu instid0(VALU_DEP_1) | instskip(NEXT) | instid1(VALU_DEP_1)
	v_or_b32_e32 v8, 1, v8
	v_sub_nc_u64_e64 v[42:43], v[8:9], s[20:21]
	v_cmp_gt_u64_e64 s13, s[20:21], v[8:9]
	s_delay_alu instid0(VALU_DEP_2) | instskip(SKIP_3) | instid1(SALU_CYCLE_1)
	v_min_u64 v[8:9], v[8:9], v[42:43]
	s_and_b32 s13, s13, exec_lo
	s_cselect_b32 s15, s15, s17
	s_cselect_b32 s14, s14, s16
	s_or_b64 s[16:17], s[14:15], 2
	s_delay_alu instid0(VALU_DEP_1) | instskip(NEXT) | instid1(VALU_DEP_1)
	v_lshlrev_b64_e32 v[8:9], 1, v[8:9]
	v_or_b32_e32 v8, 1, v8
	s_delay_alu instid0(VALU_DEP_1) | instskip(SKIP_1) | instid1(VALU_DEP_2)
	v_sub_nc_u64_e64 v[42:43], v[8:9], s[20:21]
	v_cmp_gt_u64_e64 s13, s[20:21], v[8:9]
	v_min_u64 v[8:9], v[8:9], v[42:43]
	s_and_b32 s13, s13, exec_lo
	s_cselect_b32 s15, s15, s17
	s_cselect_b32 s14, s14, s16
	s_delay_alu instid0(VALU_DEP_1) | instskip(NEXT) | instid1(VALU_DEP_1)
	v_lshlrev_b64_e32 v[8:9], 1, v[8:9]
	v_or_b32_e32 v8, 1, v8
	s_delay_alu instid0(VALU_DEP_1) | instskip(SKIP_1) | instid1(VALU_DEP_2)
	v_cmp_le_u64_e64 s13, s[20:21], v[8:9]
	v_mov_b32_e32 v9, s15
	v_cndmask_b32_e64 v2, 0, 1, s13
	s_delay_alu instid0(VALU_DEP_1)
	v_or_b32_e32 v8, s14, v2
.LBB2_656:                              ;   in Loop: Header=BB2_499 Depth=2
	v_cmp_lt_i32_e64 s13, 0, v61
	s_mov_b32 s16, exec_lo
	v_dual_ashrrev_i32 v115, 31, v59 :: v_dual_sub_nc_u32 v10, v60, v10
	s_delay_alu instid0(VALU_DEP_1) | instskip(NEXT) | instid1(VALU_DEP_1)
	v_dual_cndmask_b32 v2, 0, v32, s13 :: v_dual_lshrrev_b32 v115, 23, v115
	v_sub_nc_u32_e32 v2, v2, v61
	s_delay_alu instid0(VALU_DEP_1) | instskip(NEXT) | instid1(VALU_DEP_1)
	v_lshl_or_b32 v2, v2, 5, v73
	v_ashrrev_i32_e32 v11, 31, v2
	s_delay_alu instid0(VALU_DEP_1) | instskip(NEXT) | instid1(VALU_DEP_1)
	v_lshrrev_b32_e32 v11, 27, v11
	v_add_nc_u32_e32 v11, v2, v11
	s_delay_alu instid0(VALU_DEP_1) | instskip(NEXT) | instid1(VALU_DEP_1)
	v_and_b32_e32 v42, 0xffffffe0, v11
	v_dual_sub_nc_u32 v62, v2, v42 :: v_dual_add_nc_u32 v115, v59, v115
	v_dual_cndmask_b32 v10, 0, v10 :: v_dual_ashrrev_i32 v11, 5, v11
	s_delay_alu instid0(VALU_DEP_2) | instskip(NEXT) | instid1(VALU_DEP_3)
	v_lshlrev_b32_e32 v2, 4, v62
	v_and_b32_e32 v61, 0xfffffe00, v115
	v_ashrrev_i32_e32 v115, 9, v115
	s_delay_alu instid0(VALU_DEP_3) | instskip(NEXT) | instid1(VALU_DEP_3)
	v_lshl_add_u32 v2, v11, 9, v2
	v_sub_nc_u32_e32 v60, v59, v61
	s_delay_alu instid0(VALU_DEP_1) | instskip(NEXT) | instid1(VALU_DEP_4)
	v_cmp_lt_i32_e32 vcc_lo, 15, v60
	v_add_co_ci_u32_e64 v42, null, 0, v115, vcc_lo
	s_delay_alu instid0(VALU_DEP_1) | instskip(SKIP_1) | instid1(VALU_DEP_2)
	v_dual_sub_nc_u32 v63, v42, v11 :: v_dual_sub_nc_u32 v115, v59, v2
	v_add_nc_u32_e32 v56, v10, v56
	v_cmpx_lt_i32_e32 15, v115
	s_cbranch_execz .LBB2_660
; %bb.657:                              ;   in Loop: Header=BB2_499 Depth=2
	s_trap 2
	ds_load_b64 v[42:43], v2
	v_dual_add_nc_u32 v44, v2, v56 :: v_dual_mov_b32 v46, v8
	s_cmp_lt_i32 s45, 0
	v_mov_b32_e32 v47, v3
	s_mov_b32 s17, 0
	s_delay_alu instid0(VALU_DEP_2) | instskip(SKIP_1) | instid1(VALU_DEP_1)
	v_ashrrev_i32_e32 v45, 31, v44
	s_cselect_b32 s47, -1, 0
	v_add_nc_u64_e32 v[10:11], v[44:45], v[118:119]
	s_wait_dscnt 0x0
	v_add_nc_u64_e32 v[42:43], v[42:43], v[44:45]
	v_add_nc_u64_e32 v[44:45], v[44:45], v[40:41]
.LBB2_658:                              ;   Parent Loop BB2_47 Depth=1
                                        ;     Parent Loop BB2_499 Depth=2
                                        ; =>    This Inner Loop Header: Depth=3
	global_load_b128 v[88:91], v[10:11], off th:TH_LOAD_NT
	global_load_b128 v[92:95], v[42:43], off th:TH_LOAD_NT
	s_wait_xcnt 0x1
	v_add_nc_u64_e32 v[10:11], v[10:11], v[52:53]
	s_wait_xcnt 0x0
	v_add_nc_u64_e32 v[42:43], v[42:43], v[52:53]
	v_dual_mov_b32 v105, v3 :: v_dual_mov_b32 v109, s21
	v_sub_nc_u32_e32 v63, v63, v32
	s_wait_loadcnt 0x0
	v_add_nc_u64_e32 v[88:89], v[92:93], v[88:89]
	v_add_nc_u64_e32 v[90:91], v[94:95], v[90:91]
	s_delay_alu instid0(VALU_DEP_2) | instskip(SKIP_1) | instid1(VALU_DEP_3)
	v_cmp_gt_i64_e64 s13, 0, v[88:89]
	v_sub_nc_u64_e32 v[92:93], 0, v[88:89]
	v_cmp_gt_i64_e64 s14, 0, v[90:91]
	v_sub_nc_u64_e32 v[94:95], 0, v[90:91]
	s_and_b32 s13, s47, s13
	s_delay_alu instid0(SALU_CYCLE_1)
	v_dual_cndmask_b32 v89, v89, v93, s13 :: v_dual_cndmask_b32 v88, v88, v92, s13
	s_and_b32 s14, s47, s14
	s_delay_alu instid0(VALU_DEP_1) | instid1(SALU_CYCLE_1)
	v_dual_cndmask_b32 v91, v91, v95, s14 :: v_dual_mov_b32 v2, v88
	s_delay_alu instid0(VALU_DEP_1) | instskip(NEXT) | instid1(VALU_DEP_1)
	v_mul_u64_e32 v[92:93], v[2:3], v[46:47]
	v_mov_b32_e32 v2, v93
	s_delay_alu instid0(VALU_DEP_1) | instskip(NEXT) | instid1(VALU_DEP_1)
	v_mad_nc_u64_u32 v[92:93], v89, v8, v[2:3]
	v_dual_mov_b32 v2, v92 :: v_dual_mov_b32 v104, v93
	s_delay_alu instid0(VALU_DEP_1) | instskip(NEXT) | instid1(VALU_DEP_2)
	v_mad_nc_u64_u32 v[92:93], v88, v9, v[2:3]
	v_mad_nc_u64_u32 v[104:105], v89, v9, v[104:105]
	s_delay_alu instid0(VALU_DEP_2) | instskip(NEXT) | instid1(VALU_DEP_1)
	v_dual_cndmask_b32 v90, v90, v94, s14 :: v_dual_mov_b32 v2, v93
	v_add_nc_u64_e32 v[92:93], v[104:105], v[2:3]
	s_delay_alu instid0(VALU_DEP_2) | instskip(NEXT) | instid1(VALU_DEP_1)
	v_dual_mov_b32 v2, v90 :: v_dual_mov_b32 v105, v3
	v_mul_u64_e32 v[94:95], v[2:3], v[46:47]
	s_delay_alu instid0(VALU_DEP_1) | instskip(NEXT) | instid1(VALU_DEP_1)
	v_mov_b32_e32 v2, v95
	v_mad_nc_u64_u32 v[94:95], v91, v8, v[2:3]
	s_delay_alu instid0(VALU_DEP_1) | instskip(NEXT) | instid1(VALU_DEP_1)
	v_dual_mov_b32 v2, v94 :: v_dual_mov_b32 v104, v95
	v_mad_nc_u64_u32 v[94:95], v90, v9, v[2:3]
	s_delay_alu instid0(VALU_DEP_2) | instskip(NEXT) | instid1(VALU_DEP_2)
	v_mad_nc_u64_u32 v[104:105], v91, v9, v[104:105]
	v_mov_b32_e32 v2, v95
	s_delay_alu instid0(VALU_DEP_1) | instskip(SKIP_1) | instid1(VALU_DEP_2)
	v_add_nc_u64_e32 v[94:95], v[104:105], v[2:3]
	v_mul_u64_e32 v[104:105], s[20:21], v[92:93]
	v_mul_u64_e32 v[106:107], s[20:21], v[94:95]
	s_delay_alu instid0(VALU_DEP_2) | instskip(SKIP_1) | instid1(VALU_DEP_3)
	v_sub_nc_u64_e32 v[88:89], v[88:89], v[104:105]
	v_mov_b32_e32 v105, s21
	v_sub_nc_u64_e32 v[90:91], v[90:91], v[106:107]
	s_delay_alu instid0(VALU_DEP_3) | instskip(NEXT) | instid1(VALU_DEP_1)
	v_cmp_le_u64_e64 s15, s[20:21], v[88:89]
	v_cndmask_b32_e64 v108, 0, 1, s15
	s_delay_alu instid0(VALU_DEP_3) | instskip(NEXT) | instid1(VALU_DEP_2)
	v_cmp_le_u64_e64 s15, s[20:21], v[90:91]
	v_add_nc_u64_e32 v[88:89], v[92:93], v[108:109]
	s_delay_alu instid0(VALU_DEP_2) | instskip(NEXT) | instid1(VALU_DEP_2)
	v_cndmask_b32_e64 v104, 0, 1, s15
	v_sub_nc_u64_e32 v[92:93], 0, v[88:89]
	s_delay_alu instid0(VALU_DEP_2) | instskip(NEXT) | instid1(VALU_DEP_2)
	v_add_nc_u64_e32 v[90:91], v[94:95], v[104:105]
	v_dual_sub_nc_u32 v115, v115, v52 :: v_dual_cndmask_b32 v89, v89, v93, s13
	s_delay_alu instid0(VALU_DEP_2) | instskip(NEXT) | instid1(VALU_DEP_4)
	v_sub_nc_u64_e32 v[94:95], 0, v[90:91]
	v_cndmask_b32_e64 v88, v88, v92, s13
	s_delay_alu instid0(VALU_DEP_3) | instskip(NEXT) | instid1(VALU_DEP_3)
	v_cmp_gt_i32_e64 s13, 16, v115
	v_dual_cndmask_b32 v91, v91, v95, s14 :: v_dual_cndmask_b32 v90, v90, v94, s14
	s_or_b32 s17, s13, s17
	global_store_b128 v[44:45], v[88:91], off th:TH_STORE_NT
	s_wait_xcnt 0x0
	v_add_nc_u64_e32 v[44:45], v[44:45], v[52:53]
	s_and_not1_b32 exec_lo, exec_lo, s17
	s_cbranch_execnz .LBB2_658
; %bb.659:                              ;   in Loop: Header=BB2_499 Depth=2
	s_or_b32 exec_lo, exec_lo, s17
.LBB2_660:                              ;   in Loop: Header=BB2_499 Depth=2
	s_delay_alu instid0(SALU_CYCLE_1) | instskip(SKIP_3) | instid1(VALU_DEP_1)
	s_or_b32 exec_lo, exec_lo, s16
	v_and_b32_e32 v8, 8, v59
	s_mov_b32 s15, s44
	s_mov_b32 s14, exec_lo
                                        ; implicit-def: $vgpr57
                                        ; implicit-def: $vgpr2
                                        ; implicit-def: $vgpr58
	v_cndmask_b32_e32 v115, v60, v8, vcc_lo
	s_delay_alu instid0(VALU_DEP_1)
	v_cmpx_ne_u32_e32 0, v115
	s_cbranch_execz .LBB2_662
; %bb.661:                              ;   in Loop: Header=BB2_499 Depth=2
	v_cmp_lt_i32_e64 s13, 0, v63
	s_or_b32 s15, s44, exec_lo
	v_sub_nc_u32_e32 v8, v60, v8
	v_cndmask_b32_e64 v2, 0, v32, s13
	s_delay_alu instid0(VALU_DEP_1) | instskip(NEXT) | instid1(VALU_DEP_1)
	v_dual_cndmask_b32 v8, 0, v8, vcc_lo :: v_dual_sub_nc_u32 v2, v2, v63
	v_add3_u32 v57, v61, v56, v8
	s_delay_alu instid0(VALU_DEP_2) | instskip(NEXT) | instid1(VALU_DEP_1)
	v_lshl_add_u32 v2, v2, 5, v62
	v_ashrrev_i32_e32 v9, 31, v2
	s_delay_alu instid0(VALU_DEP_1) | instskip(NEXT) | instid1(VALU_DEP_1)
	v_lshrrev_b32_e32 v9, 27, v9
	v_add_nc_u32_e32 v9, v2, v9
	s_delay_alu instid0(VALU_DEP_1) | instskip(NEXT) | instid1(VALU_DEP_1)
	v_and_b32_e32 v9, 0xffffffe0, v9
	v_sub_nc_u32_e32 v58, v2, v9
.LBB2_662:                              ;   in Loop: Header=BB2_499 Depth=2
	s_or_b32 exec_lo, exec_lo, s14
	s_delay_alu instid0(SALU_CYCLE_1) | instskip(SKIP_1) | instid1(SALU_CYCLE_1)
	s_and_not1_b32 s13, s44, exec_lo
	s_and_b32 s14, s15, exec_lo
	s_or_b32 s44, s13, s14
.LBB2_663:                              ;   in Loop: Header=BB2_499 Depth=2
	s_or_b32 exec_lo, exec_lo, s46
	v_mov_b32_e32 v56, s45
	s_mov_b64 s[16:17], s[20:21]
	s_and_saveexec_b32 s46, s44
	s_cbranch_execz .LBB2_682
.LBB2_664:                              ;   in Loop: Header=BB2_499 Depth=2
	v_mov_b64_e32 v[8:9], -1
	s_cmp_lt_i32 s20, 1
	s_cbranch_scc1 .LBB2_669
; %bb.665:                              ;   in Loop: Header=BB2_499 Depth=2
	s_cmp_lg_u32 s20, 1
	s_cbranch_scc1 .LBB2_667
; %bb.666:                              ;   in Loop: Header=BB2_499 Depth=2
	s_mov_b64 s[44:45], 0x8000000000000000
	s_mov_b64 s[14:15], 1
	s_branch .LBB2_668
.LBB2_667:                              ;   in Loop: Header=BB2_499 Depth=2
	s_mov_b64 s[14:15], 3
	s_mov_b64 s[44:45], 0
.LBB2_668:                              ;   in Loop: Header=BB2_499 Depth=2
	v_cmp_lt_u64_e64 s13, s[14:15], s[16:17]
	s_or_b64 s[78:79], s[44:45], 2.0
	s_mov_b32 s15, s21
	s_and_b32 s13, s13, exec_lo
	s_cselect_b32 s13, 0, s16
	s_cselect_b32 s45, s45, s79
	s_cselect_b32 s44, s44, s78
	s_sub_co_i32 s13, s14, s13
	s_or_b64 s[78:79], s[44:45], 0x2000000000000000
	s_lshl_b32 s13, s13, 1
	s_delay_alu instid0(SALU_CYCLE_1) | instskip(NEXT) | instid1(SALU_CYCLE_1)
	s_or_b32 s14, s13, 1
	v_cmp_lt_u64_e64 s13, s[14:15], s[16:17]
	s_and_b32 s13, s13, exec_lo
	s_cselect_b32 s45, s45, s79
	s_cselect_b32 s44, s44, s78
	s_sub_nc_u64 s[78:79], s[14:15], s[16:17]
	s_delay_alu instid0(SALU_CYCLE_1) | instskip(SKIP_1) | instid1(VALU_DEP_1)
	v_min_u64 v[8:9], s[14:15], s[78:79]
	s_or_b64 s[14:15], s[44:45], 0x1000000000000000
	v_lshlrev_b64_e32 v[8:9], 1, v[8:9]
	s_delay_alu instid0(VALU_DEP_1) | instskip(NEXT) | instid1(VALU_DEP_1)
	v_or_b32_e32 v8, 1, v8
	v_sub_nc_u64_e64 v[10:11], v[8:9], s[16:17]
	v_cmp_gt_u64_e32 vcc_lo, s[16:17], v[8:9]
	s_delay_alu instid0(VALU_DEP_2) | instskip(SKIP_3) | instid1(SALU_CYCLE_1)
	v_min_u64 v[8:9], v[8:9], v[10:11]
	s_and_b32 s13, vcc_lo, exec_lo
	s_cselect_b32 s15, s45, s15
	s_cselect_b32 s14, s44, s14
	s_or_b64 s[44:45], s[14:15], 0x800000000000000
	s_delay_alu instid0(VALU_DEP_1) | instskip(NEXT) | instid1(VALU_DEP_1)
	v_lshlrev_b64_e32 v[8:9], 1, v[8:9]
	v_or_b32_e32 v8, 1, v8
	s_delay_alu instid0(VALU_DEP_1) | instskip(SKIP_1) | instid1(VALU_DEP_2)
	v_sub_nc_u64_e64 v[10:11], v[8:9], s[16:17]
	v_cmp_gt_u64_e32 vcc_lo, s[16:17], v[8:9]
	v_min_u64 v[8:9], v[8:9], v[10:11]
	s_and_b32 s13, vcc_lo, exec_lo
	s_cselect_b32 s15, s15, s45
	s_cselect_b32 s14, s14, s44
	s_delay_alu instid0(SALU_CYCLE_1) | instskip(NEXT) | instid1(VALU_DEP_1)
	s_or_b64 s[44:45], s[14:15], 0x400000000000000
	v_lshlrev_b64_e32 v[8:9], 1, v[8:9]
	s_delay_alu instid0(VALU_DEP_1) | instskip(NEXT) | instid1(VALU_DEP_1)
	v_or_b32_e32 v8, 1, v8
	v_sub_nc_u64_e64 v[10:11], v[8:9], s[16:17]
	v_cmp_gt_u64_e32 vcc_lo, s[16:17], v[8:9]
	s_delay_alu instid0(VALU_DEP_2) | instskip(SKIP_3) | instid1(SALU_CYCLE_1)
	v_min_u64 v[8:9], v[8:9], v[10:11]
	s_and_b32 s13, vcc_lo, exec_lo
	s_cselect_b32 s15, s15, s45
	s_cselect_b32 s14, s14, s44
	s_or_b64 s[44:45], s[14:15], 0x200000000000000
	s_delay_alu instid0(VALU_DEP_1) | instskip(NEXT) | instid1(VALU_DEP_1)
	v_lshlrev_b64_e32 v[8:9], 1, v[8:9]
	v_or_b32_e32 v8, 1, v8
	s_delay_alu instid0(VALU_DEP_1) | instskip(SKIP_1) | instid1(VALU_DEP_2)
	v_sub_nc_u64_e64 v[10:11], v[8:9], s[16:17]
	v_cmp_gt_u64_e32 vcc_lo, s[16:17], v[8:9]
	v_min_u64 v[8:9], v[8:9], v[10:11]
	s_and_b32 s13, vcc_lo, exec_lo
	s_cselect_b32 s15, s15, s45
	s_cselect_b32 s14, s14, s44
	s_delay_alu instid0(SALU_CYCLE_1) | instskip(NEXT) | instid1(VALU_DEP_1)
	;; [unrolled: 23-line block ×29, first 2 shown]
	s_or_b64 s[44:45], s[14:15], 4
	v_lshlrev_b64_e32 v[8:9], 1, v[8:9]
	s_delay_alu instid0(VALU_DEP_1) | instskip(NEXT) | instid1(VALU_DEP_1)
	v_or_b32_e32 v8, 1, v8
	v_sub_nc_u64_e64 v[10:11], v[8:9], s[16:17]
	v_cmp_gt_u64_e32 vcc_lo, s[16:17], v[8:9]
	s_delay_alu instid0(VALU_DEP_2) | instskip(SKIP_3) | instid1(SALU_CYCLE_1)
	v_min_u64 v[8:9], v[8:9], v[10:11]
	s_and_b32 s13, vcc_lo, exec_lo
	s_cselect_b32 s15, s15, s45
	s_cselect_b32 s14, s14, s44
	s_or_b64 s[44:45], s[14:15], 2
	s_delay_alu instid0(VALU_DEP_1) | instskip(NEXT) | instid1(VALU_DEP_1)
	v_lshlrev_b64_e32 v[8:9], 1, v[8:9]
	v_or_b32_e32 v8, 1, v8
	s_delay_alu instid0(VALU_DEP_1) | instskip(SKIP_1) | instid1(VALU_DEP_2)
	v_sub_nc_u64_e64 v[10:11], v[8:9], s[16:17]
	v_cmp_gt_u64_e32 vcc_lo, s[16:17], v[8:9]
	v_min_u64 v[8:9], v[8:9], v[10:11]
	s_and_b32 s13, vcc_lo, exec_lo
	s_cselect_b32 s13, s15, s45
	s_cselect_b32 s14, s14, s44
	s_delay_alu instid0(VALU_DEP_1) | instskip(NEXT) | instid1(VALU_DEP_1)
	v_lshlrev_b64_e32 v[8:9], 1, v[8:9]
	v_or_b32_e32 v8, 1, v8
	s_delay_alu instid0(VALU_DEP_1) | instskip(SKIP_2) | instid1(VALU_DEP_1)
	v_cmp_le_u64_e32 vcc_lo, s[16:17], v[8:9]
	v_mov_b32_e32 v9, s13
	v_cndmask_b32_e64 v8, 0, 1, vcc_lo
	v_or_b32_e32 v8, s14, v8
.LBB2_669:                              ;   in Loop: Header=BB2_499 Depth=2
	v_dual_ashrrev_i32 v10, 31, v2 :: v_dual_ashrrev_i32 v11, 31, v115
	s_mov_b32 s44, exec_lo
	s_delay_alu instid0(VALU_DEP_1) | instskip(NEXT) | instid1(VALU_DEP_1)
	v_dual_lshrrev_b32 v10, 27, v10 :: v_dual_lshrrev_b32 v11, 24, v11
	v_dual_add_nc_u32 v2, v2, v10 :: v_dual_add_nc_u32 v10, v115, v11
	s_delay_alu instid0(VALU_DEP_1) | instskip(NEXT) | instid1(VALU_DEP_2)
	v_and_b32_e32 v59, 0xffffff00, v10
	v_ashrrev_i32_e32 v11, 5, v2
	s_delay_alu instid0(VALU_DEP_2) | instskip(NEXT) | instid1(VALU_DEP_1)
	v_dual_ashrrev_i32 v10, 8, v10 :: v_dual_sub_nc_u32 v60, v115, v59
	v_dual_lshlrev_b32 v2, 3, v58 :: v_dual_sub_nc_u32 v10, v10, v11
	s_delay_alu instid0(VALU_DEP_2) | instskip(NEXT) | instid1(VALU_DEP_2)
	v_cmp_lt_i32_e32 vcc_lo, 7, v60
	v_lshl_add_u32 v2, v11, 8, v2
	s_delay_alu instid0(VALU_DEP_3) | instskip(NEXT) | instid1(VALU_DEP_2)
	v_add_co_ci_u32_e64 v61, null, 0, v10, vcc_lo
	v_sub_nc_u32_e32 v62, v115, v2
	s_delay_alu instid0(VALU_DEP_1)
	v_cmpx_lt_i32_e32 7, v62
	s_cbranch_execz .LBB2_673
; %bb.670:                              ;   in Loop: Header=BB2_499 Depth=2
	s_trap 2
	ds_load_b64 v[44:45], v2
	v_add_nc_u32_e32 v46, v2, v57
	v_cmp_gt_i32_e64 s13, 0, v56
	s_mov_b32 s45, 0
	v_ashrrev_i32_e32 v47, 31, v46
	s_delay_alu instid0(VALU_DEP_1)
	v_add_nc_u64_e32 v[10:11], v[46:47], v[118:119]
	v_add_nc_u64_e32 v[42:43], v[46:47], v[40:41]
	s_wait_dscnt 0x0
	v_add_nc_u64_e32 v[44:45], v[44:45], v[46:47]
	v_dual_mov_b32 v46, v8 :: v_dual_mov_b32 v47, v3
.LBB2_671:                              ;   Parent Loop BB2_47 Depth=1
                                        ;     Parent Loop BB2_499 Depth=2
                                        ; =>    This Inner Loop Header: Depth=3
	flat_load_b64 v[88:89], v[10:11] th:TH_LOAD_NT
	flat_load_b64 v[90:91], v[44:45] th:TH_LOAD_NT
	s_wait_xcnt 0x1
	v_add_nc_u64_e32 v[10:11], v[10:11], v[54:55]
	s_wait_xcnt 0x0
	v_add_nc_u64_e32 v[44:45], v[44:45], v[54:55]
	v_dual_sub_nc_u32 v61, v61, v32 :: v_dual_mov_b32 v93, v3
	v_sub_nc_u32_e32 v62, v62, v54
	s_wait_loadcnt_dscnt 0x0
	v_add_nc_u64_e32 v[88:89], v[90:91], v[88:89]
	s_delay_alu instid0(VALU_DEP_1)
	v_cmp_gt_i64_e64 s14, 0, v[88:89]
	v_sub_nc_u64_e32 v[90:91], 0, v[88:89]
	s_and_b32 s14, s13, s14
	s_delay_alu instid0(VALU_DEP_1) | instid1(SALU_CYCLE_1)
	v_dual_cndmask_b32 v89, v89, v91, s14 :: v_dual_cndmask_b32 v88, v88, v90, s14
	s_delay_alu instid0(VALU_DEP_1) | instskip(NEXT) | instid1(VALU_DEP_1)
	v_mov_b32_e32 v2, v88
	v_mul_u64_e32 v[90:91], v[2:3], v[46:47]
	s_delay_alu instid0(VALU_DEP_1) | instskip(NEXT) | instid1(VALU_DEP_1)
	v_mov_b32_e32 v2, v91
	v_mad_nc_u64_u32 v[90:91], v89, v8, v[2:3]
	s_delay_alu instid0(VALU_DEP_1) | instskip(NEXT) | instid1(VALU_DEP_1)
	v_dual_mov_b32 v2, v90 :: v_dual_mov_b32 v92, v91
	v_mad_nc_u64_u32 v[90:91], v88, v9, v[2:3]
	s_delay_alu instid0(VALU_DEP_2) | instskip(NEXT) | instid1(VALU_DEP_2)
	v_mad_nc_u64_u32 v[92:93], v89, v9, v[92:93]
	v_mov_b32_e32 v2, v91
	s_delay_alu instid0(VALU_DEP_1) | instskip(NEXT) | instid1(VALU_DEP_1)
	v_add_nc_u64_e32 v[90:91], v[92:93], v[2:3]
	v_mul_u64_e32 v[92:93], s[16:17], v[90:91]
	s_delay_alu instid0(VALU_DEP_1) | instskip(SKIP_1) | instid1(VALU_DEP_2)
	v_sub_nc_u64_e32 v[88:89], v[88:89], v[92:93]
	v_mov_b32_e32 v93, s21
	v_cmp_le_u64_e64 s15, s[16:17], v[88:89]
	s_delay_alu instid0(VALU_DEP_1) | instskip(NEXT) | instid1(VALU_DEP_1)
	v_cndmask_b32_e64 v92, 0, 1, s15
	v_add_nc_u64_e32 v[88:89], v[90:91], v[92:93]
	s_delay_alu instid0(VALU_DEP_1) | instskip(NEXT) | instid1(VALU_DEP_1)
	v_sub_nc_u64_e32 v[90:91], 0, v[88:89]
	v_dual_cndmask_b32 v89, v89, v91, s14 :: v_dual_cndmask_b32 v88, v88, v90, s14
	v_cmp_gt_i32_e64 s14, 8, v62
	flat_store_b64 v[42:43], v[88:89] th:TH_STORE_NT
	s_wait_xcnt 0x0
	v_add_nc_u64_e32 v[42:43], v[42:43], v[54:55]
	s_or_b32 s45, s14, s45
	s_delay_alu instid0(SALU_CYCLE_1)
	s_and_not1_b32 exec_lo, exec_lo, s45
	s_cbranch_execnz .LBB2_671
; %bb.672:                              ;   in Loop: Header=BB2_499 Depth=2
	s_or_b32 exec_lo, exec_lo, s45
.LBB2_673:                              ;   in Loop: Header=BB2_499 Depth=2
	s_delay_alu instid0(SALU_CYCLE_1) | instskip(SKIP_1) | instid1(VALU_DEP_1)
	s_or_b32 exec_lo, exec_lo, s44
	v_and_b32_e32 v2, 7, v115
	v_cndmask_b32_e32 v10, v60, v2, vcc_lo
	s_delay_alu instid0(VALU_DEP_1)
	v_cmp_ne_u32_e64 s13, 0, v10
	s_and_b32 exec_lo, exec_lo, s13
	s_cbranch_execz .LBB2_682
; %bb.674:                              ;   in Loop: Header=BB2_499 Depth=2
	v_mov_b64_e32 v[8:9], -1
	s_cmp_lt_i32 s20, 1
	s_cbranch_scc1 .LBB2_679
; %bb.675:                              ;   in Loop: Header=BB2_499 Depth=2
	s_cmp_lg_u32 s20, 1
	s_cbranch_scc1 .LBB2_677
; %bb.676:                              ;   in Loop: Header=BB2_499 Depth=2
	s_mov_b64 s[44:45], 0x8000000000000000
	s_mov_b64 s[14:15], 1
	s_branch .LBB2_678
.LBB2_677:                              ;   in Loop: Header=BB2_499 Depth=2
	s_mov_b64 s[14:15], 3
	s_mov_b64 s[44:45], 0
.LBB2_678:                              ;   in Loop: Header=BB2_499 Depth=2
	v_cmp_lt_u64_e64 s13, s[14:15], s[16:17]
	s_or_b64 s[78:79], s[44:45], 2.0
	s_and_b32 s13, s13, exec_lo
	s_cselect_b32 s13, 0, s16
	s_cselect_b32 s45, s45, s79
	;; [unrolled: 1-line block ×3, first 2 shown]
	s_sub_co_i32 s13, s14, s13
	s_or_b64 s[14:15], s[44:45], 0x2000000000000000
	s_lshl_b32 s13, s13, 1
	s_delay_alu instid0(SALU_CYCLE_1) | instskip(NEXT) | instid1(SALU_CYCLE_1)
	s_or_b32 s20, s13, 1
	v_cmp_lt_u64_e64 s13, s[20:21], s[16:17]
	s_and_b32 s13, s13, exec_lo
	s_cselect_b32 s15, s45, s15
	s_cselect_b32 s14, s44, s14
	s_sub_nc_u64 s[44:45], s[20:21], s[16:17]
	s_delay_alu instid0(SALU_CYCLE_1) | instskip(SKIP_1) | instid1(VALU_DEP_1)
	v_min_u64 v[8:9], s[20:21], s[44:45]
	s_or_b64 s[44:45], s[14:15], 0x1000000000000000
	v_lshlrev_b64_e32 v[8:9], 1, v[8:9]
	s_delay_alu instid0(VALU_DEP_1) | instskip(NEXT) | instid1(VALU_DEP_1)
	v_or_b32_e32 v8, 1, v8
	v_sub_nc_u64_e64 v[42:43], v[8:9], s[16:17]
	v_cmp_gt_u64_e64 s13, s[16:17], v[8:9]
	s_delay_alu instid0(VALU_DEP_2) | instskip(SKIP_3) | instid1(SALU_CYCLE_1)
	v_min_u64 v[8:9], v[8:9], v[42:43]
	s_and_b32 s13, s13, exec_lo
	s_cselect_b32 s15, s15, s45
	s_cselect_b32 s14, s14, s44
	s_or_b64 s[44:45], s[14:15], 0x800000000000000
	s_delay_alu instid0(VALU_DEP_1) | instskip(NEXT) | instid1(VALU_DEP_1)
	v_lshlrev_b64_e32 v[8:9], 1, v[8:9]
	v_or_b32_e32 v8, 1, v8
	s_delay_alu instid0(VALU_DEP_1) | instskip(SKIP_1) | instid1(VALU_DEP_2)
	v_sub_nc_u64_e64 v[42:43], v[8:9], s[16:17]
	v_cmp_gt_u64_e64 s13, s[16:17], v[8:9]
	v_min_u64 v[8:9], v[8:9], v[42:43]
	s_and_b32 s13, s13, exec_lo
	s_cselect_b32 s15, s15, s45
	s_cselect_b32 s14, s14, s44
	s_delay_alu instid0(SALU_CYCLE_1) | instskip(NEXT) | instid1(VALU_DEP_1)
	s_or_b64 s[44:45], s[14:15], 0x400000000000000
	v_lshlrev_b64_e32 v[8:9], 1, v[8:9]
	s_delay_alu instid0(VALU_DEP_1) | instskip(NEXT) | instid1(VALU_DEP_1)
	v_or_b32_e32 v8, 1, v8
	v_sub_nc_u64_e64 v[42:43], v[8:9], s[16:17]
	v_cmp_gt_u64_e64 s13, s[16:17], v[8:9]
	s_delay_alu instid0(VALU_DEP_2) | instskip(SKIP_3) | instid1(SALU_CYCLE_1)
	v_min_u64 v[8:9], v[8:9], v[42:43]
	s_and_b32 s13, s13, exec_lo
	s_cselect_b32 s15, s15, s45
	s_cselect_b32 s14, s14, s44
	s_or_b64 s[44:45], s[14:15], 0x200000000000000
	s_delay_alu instid0(VALU_DEP_1) | instskip(NEXT) | instid1(VALU_DEP_1)
	v_lshlrev_b64_e32 v[8:9], 1, v[8:9]
	v_or_b32_e32 v8, 1, v8
	s_delay_alu instid0(VALU_DEP_1) | instskip(SKIP_1) | instid1(VALU_DEP_2)
	v_sub_nc_u64_e64 v[42:43], v[8:9], s[16:17]
	v_cmp_gt_u64_e64 s13, s[16:17], v[8:9]
	v_min_u64 v[8:9], v[8:9], v[42:43]
	s_and_b32 s13, s13, exec_lo
	s_cselect_b32 s15, s15, s45
	s_cselect_b32 s14, s14, s44
	s_delay_alu instid0(SALU_CYCLE_1) | instskip(NEXT) | instid1(VALU_DEP_1)
	;; [unrolled: 23-line block ×29, first 2 shown]
	s_or_b64 s[44:45], s[14:15], 4
	v_lshlrev_b64_e32 v[8:9], 1, v[8:9]
	s_delay_alu instid0(VALU_DEP_1) | instskip(NEXT) | instid1(VALU_DEP_1)
	v_or_b32_e32 v8, 1, v8
	v_sub_nc_u64_e64 v[42:43], v[8:9], s[16:17]
	v_cmp_gt_u64_e64 s13, s[16:17], v[8:9]
	s_delay_alu instid0(VALU_DEP_2) | instskip(SKIP_3) | instid1(SALU_CYCLE_1)
	v_min_u64 v[8:9], v[8:9], v[42:43]
	s_and_b32 s13, s13, exec_lo
	s_cselect_b32 s15, s15, s45
	s_cselect_b32 s14, s14, s44
	s_or_b64 s[44:45], s[14:15], 2
	s_delay_alu instid0(VALU_DEP_1) | instskip(NEXT) | instid1(VALU_DEP_1)
	v_lshlrev_b64_e32 v[8:9], 1, v[8:9]
	v_or_b32_e32 v8, 1, v8
	s_delay_alu instid0(VALU_DEP_1) | instskip(SKIP_1) | instid1(VALU_DEP_2)
	v_sub_nc_u64_e64 v[42:43], v[8:9], s[16:17]
	v_cmp_gt_u64_e64 s13, s[16:17], v[8:9]
	v_min_u64 v[8:9], v[8:9], v[42:43]
	s_and_b32 s13, s13, exec_lo
	s_cselect_b32 s15, s15, s45
	s_cselect_b32 s14, s14, s44
	s_delay_alu instid0(VALU_DEP_1) | instskip(NEXT) | instid1(VALU_DEP_1)
	v_lshlrev_b64_e32 v[8:9], 1, v[8:9]
	v_or_b32_e32 v8, 1, v8
	s_delay_alu instid0(VALU_DEP_1) | instskip(SKIP_1) | instid1(VALU_DEP_2)
	v_cmp_le_u64_e64 s13, s[16:17], v[8:9]
	v_mov_b32_e32 v9, s15
	v_cndmask_b32_e64 v8, 0, 1, s13
	s_delay_alu instid0(VALU_DEP_1)
	v_or_b32_e32 v8, s14, v8
.LBB2_679:                              ;   in Loop: Header=BB2_499 Depth=2
	v_cmp_lt_i32_e64 s13, 0, v61
	s_delay_alu instid0(VALU_DEP_1) | instskip(NEXT) | instid1(VALU_DEP_1)
	v_cndmask_b32_e64 v11, 0, v32, s13
	v_sub_nc_u32_e32 v11, v11, v61
	s_delay_alu instid0(VALU_DEP_1) | instskip(NEXT) | instid1(VALU_DEP_1)
	v_lshl_add_u32 v11, v11, 5, v58
	v_ashrrev_i32_e32 v115, 31, v11
	s_delay_alu instid0(VALU_DEP_1) | instskip(NEXT) | instid1(VALU_DEP_1)
	v_lshrrev_b32_e32 v115, 27, v115
	v_add_nc_u32_e32 v115, v11, v115
	s_delay_alu instid0(VALU_DEP_1) | instskip(NEXT) | instid1(VALU_DEP_1)
	v_and_b32_e32 v42, 0x1fffffe0, v115
	v_dual_lshlrev_b32 v115, 3, v115 :: v_dual_sub_nc_u32 v11, v11, v42
	s_delay_alu instid0(VALU_DEP_1) | instskip(NEXT) | instid1(VALU_DEP_1)
	v_and_b32_e32 v115, 0xffffff00, v115
	v_lshl_add_u32 v11, v11, 3, v115
	s_delay_alu instid0(VALU_DEP_1) | instskip(NEXT) | instid1(VALU_DEP_1)
	v_sub_nc_u32_e32 v115, v10, v11
	v_cmp_lt_i32_e64 s13, 7, v115
	s_and_b32 exec_lo, exec_lo, s13
	s_cbranch_execz .LBB2_682
; %bb.680:                              ;   in Loop: Header=BB2_499 Depth=2
	v_dual_sub_nc_u32 v2, v60, v2 :: v_dual_add_nc_u32 v10, v59, v57
	s_trap 2
	s_mov_b32 s15, 0
	ds_load_b64 v[42:43], v2
	v_cndmask_b32_e32 v2, 0, v2, vcc_lo
	v_cmp_gt_i32_e32 vcc_lo, 0, v56
	s_delay_alu instid0(VALU_DEP_2) | instskip(NEXT) | instid1(VALU_DEP_1)
	v_add3_u32 v44, v10, v2, v11
	v_ashrrev_i32_e32 v45, 31, v44
	s_delay_alu instid0(VALU_DEP_1)
	v_add_nc_u64_e32 v[10:11], v[44:45], v[118:119]
	v_add_nc_u64_e32 v[40:41], v[44:45], v[40:41]
	s_wait_dscnt 0x0
	v_add_nc_u64_e32 v[118:119], v[42:43], v[44:45]
	v_dual_mov_b32 v42, v8 :: v_dual_mov_b32 v43, v3
.LBB2_681:                              ;   Parent Loop BB2_47 Depth=1
                                        ;     Parent Loop BB2_499 Depth=2
                                        ; =>    This Inner Loop Header: Depth=3
	flat_load_b64 v[44:45], v[10:11] th:TH_LOAD_NT
	flat_load_b64 v[46:47], v[118:119] th:TH_LOAD_NT
	s_wait_xcnt 0x1
	v_add_nc_u64_e32 v[10:11], v[10:11], v[64:65]
	s_wait_xcnt 0x0
	v_add_nc_u64_e32 v[118:119], v[118:119], v[64:65]
	v_mov_b32_e32 v57, v3
	s_wait_loadcnt_dscnt 0x0
	v_add_nc_u64_e32 v[44:45], v[46:47], v[44:45]
	s_delay_alu instid0(VALU_DEP_1)
	v_cmp_gt_i64_e64 s13, 0, v[44:45]
	v_sub_nc_u64_e32 v[46:47], 0, v[44:45]
	s_and_b32 s13, vcc_lo, s13
	s_delay_alu instid0(VALU_DEP_1) | instid1(SALU_CYCLE_1)
	v_dual_cndmask_b32 v45, v45, v47, s13 :: v_dual_cndmask_b32 v44, v44, v46, s13
	s_delay_alu instid0(VALU_DEP_1) | instskip(NEXT) | instid1(VALU_DEP_1)
	v_mov_b32_e32 v2, v44
	v_mul_u64_e32 v[46:47], v[2:3], v[42:43]
	s_delay_alu instid0(VALU_DEP_1) | instskip(NEXT) | instid1(VALU_DEP_1)
	v_mov_b32_e32 v2, v47
	v_mad_nc_u64_u32 v[46:47], v45, v8, v[2:3]
	s_delay_alu instid0(VALU_DEP_1) | instskip(NEXT) | instid1(VALU_DEP_1)
	v_dual_mov_b32 v2, v46 :: v_dual_mov_b32 v56, v47
	v_mad_nc_u64_u32 v[46:47], v44, v9, v[2:3]
	s_delay_alu instid0(VALU_DEP_2) | instskip(NEXT) | instid1(VALU_DEP_2)
	v_mad_nc_u64_u32 v[56:57], v45, v9, v[56:57]
	v_mov_b32_e32 v2, v47
	s_delay_alu instid0(VALU_DEP_1) | instskip(NEXT) | instid1(VALU_DEP_1)
	v_add_nc_u64_e32 v[46:47], v[56:57], v[2:3]
	v_mul_u64_e32 v[56:57], s[16:17], v[46:47]
	s_delay_alu instid0(VALU_DEP_1) | instskip(SKIP_1) | instid1(VALU_DEP_2)
	v_sub_nc_u64_e32 v[44:45], v[44:45], v[56:57]
	v_mov_b32_e32 v57, s21
	v_cmp_le_u64_e64 s14, s[16:17], v[44:45]
	s_delay_alu instid0(VALU_DEP_1) | instskip(NEXT) | instid1(VALU_DEP_1)
	v_cndmask_b32_e64 v56, 0, 1, s14
	v_add_nc_u64_e32 v[44:45], v[46:47], v[56:57]
	s_delay_alu instid0(VALU_DEP_1) | instskip(NEXT) | instid1(VALU_DEP_1)
	v_sub_nc_u64_e32 v[46:47], 0, v[44:45]
	v_dual_sub_nc_u32 v115, v115, v64 :: v_dual_cndmask_b32 v44, v44, v46, s13
	s_delay_alu instid0(VALU_DEP_2) | instskip(NEXT) | instid1(VALU_DEP_2)
	v_cndmask_b32_e64 v45, v45, v47, s13
	v_cmp_gt_i32_e64 s13, 8, v115
	flat_store_b64 v[40:41], v[44:45] th:TH_STORE_NT
	s_wait_xcnt 0x0
	v_add_nc_u64_e32 v[40:41], v[40:41], v[64:65]
	s_or_b32 s15, s13, s15
	s_delay_alu instid0(SALU_CYCLE_1)
	s_and_not1_b32 exec_lo, exec_lo, s15
	s_cbranch_execnz .LBB2_681
.LBB2_682:                              ;   in Loop: Header=BB2_499 Depth=2
	s_or_b32 exec_lo, exec_lo, s46
	v_cmp_lt_i32_e64 s13, 0, v113
	s_and_saveexec_b32 s14, s2
	s_cbranch_execz .LBB2_578
.LBB2_683:                              ;   in Loop: Header=BB2_499 Depth=2
	s_and_saveexec_b32 s15, s3
	s_delay_alu instid0(SALU_CYCLE_1)
	s_xor_b32 s15, exec_lo, s15
	s_cbranch_execz .LBB2_698
; %bb.684:                              ;   in Loop: Header=BB2_499 Depth=2
	s_and_saveexec_b32 s16, s6
	s_cbranch_execz .LBB2_697
; %bb.685:                              ;   in Loop: Header=BB2_499 Depth=2
	s_mov_b32 s20, exec_lo
	s_mov_b32 s17, exec_lo
	v_mbcnt_lo_u32_b32 v2, s20, 0
	global_wb scope:SCOPE_DEV
	s_wait_storecnt 0x0
	s_wait_loadcnt_dscnt 0x0
	global_inv scope:SCOPE_DEV
	v_cmpx_eq_u32_e32 0, v2
	s_cbranch_execz .LBB2_687
; %bb.686:                              ;   in Loop: Header=BB2_499 Depth=2
	s_bcnt1_i32_b32 s20, s20
	s_delay_alu instid0(SALU_CYCLE_1)
	v_mov_b32_e32 v2, s20
	s_wait_loadcnt 0x0
	ds_add_u64 v2, v[2:3]
	s_trap 2
.LBB2_687:                              ;   in Loop: Header=BB2_499 Depth=2
	s_or_b32 exec_lo, exec_lo, s17
	s_trap 2
	ds_load_b64 v[8:9], v2
	s_wait_dscnt 0x0
	v_add_nc_u64_e32 v[12:13], v[12:13], v[32:33]
	s_mov_b32 s17, exec_lo
	s_delay_alu instid0(VALU_DEP_1)
	v_cmpx_lt_u64_e64 v[8:9], v[12:13]
	s_cbranch_execz .LBB2_696
; %bb.688:                              ;   in Loop: Header=BB2_499 Depth=2
	s_mov_b32 s20, 0
	s_mov_b32 s46, 0
                                        ; implicit-def: $sgpr44
                                        ; implicit-def: $sgpr45
	s_branch .LBB2_690
.LBB2_689:                              ;   in Loop: Header=BB2_690 Depth=3
	s_or_b32 exec_lo, exec_lo, s77
	s_delay_alu instid0(SALU_CYCLE_1) | instskip(NEXT) | instid1(SALU_CYCLE_1)
	s_and_b32 s47, exec_lo, s78
	s_or_b32 s20, s47, s20
	s_and_not1_b32 s44, s44, exec_lo
	s_and_b32 s47, s45, exec_lo
	s_delay_alu instid0(SALU_CYCLE_1)
	s_or_b32 s44, s44, s47
	s_and_not1_b32 exec_lo, exec_lo, s20
	s_cbranch_execz .LBB2_694
.LBB2_690:                              ;   Parent Loop BB2_47 Depth=1
                                        ;     Parent Loop BB2_499 Depth=2
                                        ; =>    This Inner Loop Header: Depth=3
	s_add_co_i32 s46, s46, 1
	s_delay_alu instid0(SALU_CYCLE_1) | instskip(SKIP_1) | instid1(SALU_CYCLE_1)
	s_cmp_lg_u32 s46, 0x2710
	s_cselect_b32 s47, -1, 0
	s_and_b32 vcc_lo, exec_lo, s47
	s_cbranch_vccz .LBB2_692
; %bb.691:                              ;   in Loop: Header=BB2_690 Depth=3
	s_mov_b32 s78, -1
	s_or_b32 s45, s45, exec_lo
	s_and_saveexec_b32 s77, s47
	s_cbranch_execz .LBB2_689
	s_branch .LBB2_693
.LBB2_692:                              ;   in Loop: Header=BB2_690 Depth=3
	s_trap 2
	ds_load_b64 v[8:9], v2
	s_and_not1_b32 s47, s47, exec_lo
	s_mov_b32 s46, 0
	s_wait_loadcnt_dscnt 0x0
	flat_load_b32 v2, v[8:9] scope:SCOPE_SYS
	s_wait_loadcnt_dscnt 0x0
	global_inv scope:SCOPE_SYS
	v_cmp_eq_u32_e32 vcc_lo, 0, v2
	s_and_b32 s77, vcc_lo, exec_lo
	s_delay_alu instid0(SALU_CYCLE_1)
	s_or_b32 s47, s47, s77
	s_mov_b32 s78, -1
	s_or_b32 s45, s45, exec_lo
	s_and_saveexec_b32 s77, s47
	s_cbranch_execz .LBB2_689
.LBB2_693:                              ;   in Loop: Header=BB2_690 Depth=3
	s_sleep 1
	s_trap 2
	ds_load_b64 v[8:9], v2
	s_wait_dscnt 0x0
	s_and_not1_b32 s45, s45, exec_lo
	v_cmp_ge_u64_e32 vcc_lo, v[8:9], v[12:13]
	s_or_not1_b32 s78, vcc_lo, exec_lo
	s_branch .LBB2_689
.LBB2_694:                              ;   in Loop: Header=BB2_499 Depth=2
	s_or_b32 exec_lo, exec_lo, s20
	s_and_saveexec_b32 s20, s44
	s_delay_alu instid0(SALU_CYCLE_1)
	s_xor_b32 s20, exec_lo, s20
	s_cbranch_execz .LBB2_696
; %bb.695:                              ;   in Loop: Header=BB2_499 Depth=2
	ds_store_b32 v2, v75
	s_trap 2
.LBB2_696:                              ;   in Loop: Header=BB2_499 Depth=2
	s_or_b32 exec_lo, exec_lo, s17
	;;#ASMSTART
	s_wakeup
	;;#ASMEND
.LBB2_697:                              ;   in Loop: Header=BB2_499 Depth=2
	s_or_b32 exec_lo, exec_lo, s16
.LBB2_698:                              ;   in Loop: Header=BB2_499 Depth=2
	s_and_not1_saveexec_b32 s15, s15
	s_cbranch_execz .LBB2_700
; %bb.699:                              ;   in Loop: Header=BB2_499 Depth=2
	global_wb scope:SCOPE_DEV
	s_wait_storecnt 0x0
	s_wait_loadcnt_dscnt 0x0
	global_inv scope:SCOPE_DEV
	s_barrier_signal -1
	s_barrier_wait -1
.LBB2_700:                              ;   in Loop: Header=BB2_499 Depth=2
	s_or_b32 exec_lo, exec_lo, s15
	s_delay_alu instid0(SALU_CYCLE_1) | instskip(SKIP_1) | instid1(SALU_CYCLE_1)
	s_or_b32 exec_lo, exec_lo, s14
                                        ; implicit-def: $vgpr2
	s_and_saveexec_b32 s14, s12
	s_xor_b32 s14, exec_lo, s14
	s_cbranch_execnz .LBB2_579
.LBB2_701:                              ;   in Loop: Header=BB2_499 Depth=2
	s_and_not1_saveexec_b32 s13, s14
	s_cbranch_execz .LBB2_720
.LBB2_702:                              ;   in Loop: Header=BB2_499 Depth=2
	s_and_saveexec_b32 s14, s3
	s_delay_alu instid0(SALU_CYCLE_1)
	s_xor_b32 s14, exec_lo, s14
	s_cbranch_execz .LBB2_717
; %bb.703:                              ;   in Loop: Header=BB2_499 Depth=2
	s_and_saveexec_b32 s15, s6
	s_cbranch_execz .LBB2_716
; %bb.704:                              ;   in Loop: Header=BB2_499 Depth=2
	s_mov_b32 s17, exec_lo
	s_mov_b32 s16, exec_lo
	v_mbcnt_lo_u32_b32 v2, s17, 0
	;;#ASMSTART
	s_waitcnt lgkmcnt(0) vmcnt(0)
	;;#ASMEND
	s_delay_alu instid0(VALU_DEP_1)
	v_cmpx_eq_u32_e32 0, v2
	s_cbranch_execz .LBB2_706
; %bb.705:                              ;   in Loop: Header=BB2_499 Depth=2
	s_bcnt1_i32_b32 s17, s17
	s_delay_alu instid0(SALU_CYCLE_1)
	v_mov_b32_e32 v2, s17
	s_wait_storecnt 0x0
	s_wait_loadcnt_dscnt 0x0
	ds_add_u64 v2, v[2:3]
	s_trap 2
.LBB2_706:                              ;   in Loop: Header=BB2_499 Depth=2
	s_or_b32 exec_lo, exec_lo, s16
	s_trap 2
	ds_load_b64 v[8:9], v2
	s_wait_dscnt 0x0
	v_add_nc_u64_e32 v[12:13], v[12:13], v[32:33]
	s_mov_b32 s16, exec_lo
	s_delay_alu instid0(VALU_DEP_1)
	v_cmpx_lt_u64_e64 v[8:9], v[12:13]
	s_cbranch_execz .LBB2_715
; %bb.707:                              ;   in Loop: Header=BB2_499 Depth=2
	s_mov_b32 s17, 0
	s_mov_b32 s45, 0
                                        ; implicit-def: $sgpr20
                                        ; implicit-def: $sgpr44
	s_branch .LBB2_709
.LBB2_708:                              ;   in Loop: Header=BB2_709 Depth=3
	s_or_b32 exec_lo, exec_lo, s47
	s_delay_alu instid0(SALU_CYCLE_1) | instskip(NEXT) | instid1(SALU_CYCLE_1)
	s_and_b32 s46, exec_lo, s77
	s_or_b32 s17, s46, s17
	s_and_not1_b32 s20, s20, exec_lo
	s_and_b32 s46, s44, exec_lo
	s_delay_alu instid0(SALU_CYCLE_1)
	s_or_b32 s20, s20, s46
	s_and_not1_b32 exec_lo, exec_lo, s17
	s_cbranch_execz .LBB2_713
.LBB2_709:                              ;   Parent Loop BB2_47 Depth=1
                                        ;     Parent Loop BB2_499 Depth=2
                                        ; =>    This Inner Loop Header: Depth=3
	s_add_co_i32 s45, s45, 1
	s_delay_alu instid0(SALU_CYCLE_1) | instskip(SKIP_1) | instid1(SALU_CYCLE_1)
	s_cmp_lg_u32 s45, 0x2710
	s_cselect_b32 s46, -1, 0
	s_and_b32 vcc_lo, exec_lo, s46
	s_cbranch_vccz .LBB2_711
; %bb.710:                              ;   in Loop: Header=BB2_709 Depth=3
	s_mov_b32 s77, -1
	s_or_b32 s44, s44, exec_lo
	s_and_saveexec_b32 s47, s46
	s_cbranch_execz .LBB2_708
	s_branch .LBB2_712
.LBB2_711:                              ;   in Loop: Header=BB2_709 Depth=3
	s_trap 2
	ds_load_b64 v[8:9], v2
	s_and_not1_b32 s46, s46, exec_lo
	s_mov_b32 s45, 0
	s_wait_storecnt 0x0
	s_wait_loadcnt_dscnt 0x0
	flat_load_b32 v2, v[8:9] scope:SCOPE_SYS
	s_wait_loadcnt_dscnt 0x0
	global_inv scope:SCOPE_SYS
	v_cmp_eq_u32_e32 vcc_lo, 0, v2
	s_and_b32 s47, vcc_lo, exec_lo
	s_delay_alu instid0(SALU_CYCLE_1)
	s_or_b32 s46, s46, s47
	s_mov_b32 s77, -1
	s_or_b32 s44, s44, exec_lo
	s_and_saveexec_b32 s47, s46
	s_cbranch_execz .LBB2_708
.LBB2_712:                              ;   in Loop: Header=BB2_709 Depth=3
	s_sleep 1
	s_trap 2
	ds_load_b64 v[8:9], v2
	s_wait_dscnt 0x0
	s_and_not1_b32 s44, s44, exec_lo
	v_cmp_ge_u64_e32 vcc_lo, v[8:9], v[12:13]
	s_or_not1_b32 s77, vcc_lo, exec_lo
	s_branch .LBB2_708
.LBB2_713:                              ;   in Loop: Header=BB2_499 Depth=2
	s_or_b32 exec_lo, exec_lo, s17
	s_and_saveexec_b32 s17, s20
	s_delay_alu instid0(SALU_CYCLE_1)
	s_xor_b32 s17, exec_lo, s17
	s_cbranch_execz .LBB2_715
; %bb.714:                              ;   in Loop: Header=BB2_499 Depth=2
	ds_store_b32 v2, v75
	s_trap 2
.LBB2_715:                              ;   in Loop: Header=BB2_499 Depth=2
	s_or_b32 exec_lo, exec_lo, s16
	;;#ASMSTART
	s_wakeup
	;;#ASMEND
.LBB2_716:                              ;   in Loop: Header=BB2_499 Depth=2
	s_or_b32 exec_lo, exec_lo, s15
.LBB2_717:                              ;   in Loop: Header=BB2_499 Depth=2
	s_and_not1_saveexec_b32 s14, s14
	s_cbranch_execz .LBB2_719
; %bb.718:                              ;   in Loop: Header=BB2_499 Depth=2
	;;#ASMSTART
	s_waitcnt lgkmcnt(0) vmcnt(0)
	;;#ASMEND
	s_barrier_signal -1
	s_barrier_wait -1
.LBB2_719:                              ;   in Loop: Header=BB2_499 Depth=2
	s_or_b32 exec_lo, exec_lo, s14
	v_and_b32_e32 v2, 16, v30
.LBB2_720:                              ;   in Loop: Header=BB2_499 Depth=2
	s_or_b32 exec_lo, exec_lo, s13
	s_delay_alu instid0(VALU_DEP_1) | instskip(SKIP_1) | instid1(SALU_CYCLE_1)
	v_cmp_ne_u32_e32 vcc_lo, 0, v2
	s_xor_b32 s13, s4, -1
	s_and_b32 s14, vcc_lo, s13
	s_delay_alu instid0(SALU_CYCLE_1)
	s_and_saveexec_b32 s13, s14
	s_cbranch_execz .LBB2_722
; %bb.721:                              ;   in Loop: Header=BB2_499 Depth=2
	global_wb scope:SCOPE_SYS
	s_wait_storecnt 0x0
	s_wait_loadcnt_dscnt 0x0
	flat_store_b32 v[26:27], v75 scope:SCOPE_SYS
.LBB2_722:                              ;   in Loop: Header=BB2_499 Depth=2
	s_wait_xcnt 0x0
	s_or_b32 exec_lo, exec_lo, s13
	v_and_b32_e32 v2, 48, v30
	s_mov_b32 s13, exec_lo
	s_delay_alu instid0(VALU_DEP_1)
	v_cmpx_ne_u32_e32 0, v2
	s_cbranch_execz .LBB2_498
; %bb.723:                              ;   in Loop: Header=BB2_499 Depth=2
	v_add_nc_u64_e32 v[98:99], 2, v[98:99]
	global_wb scope:SCOPE_SYS
	s_wait_storecnt 0x0
	s_wait_loadcnt_dscnt 0x0
	flat_store_b64 v[20:21], v[98:99] scope:SCOPE_SYS
	s_branch .LBB2_498
.LBB2_724:                              ;   in Loop: Header=BB2_47 Depth=1
	s_or_b32 exec_lo, exec_lo, s74
.LBB2_725:                              ;   in Loop: Header=BB2_47 Depth=1
	s_delay_alu instid0(SALU_CYCLE_1) | instskip(NEXT) | instid1(SALU_CYCLE_1)
	s_or_b32 exec_lo, exec_lo, s41
	s_mov_b32 s14, exec_lo
	v_cmpx_gt_i32_e32 2, v2
	s_cbranch_execz .LBB2_801
; %bb.726:                              ;   in Loop: Header=BB2_47 Depth=1
	v_cmp_eq_u32_e64 s16, 0, v2
	s_mov_b32 s15, 0
	s_branch .LBB2_728
.LBB2_727:                              ;   in Loop: Header=BB2_728 Depth=2
	s_wait_xcnt 0x0
	s_or_b32 exec_lo, exec_lo, s13
	v_add_nc_u32_e32 v114, v112, v114
	s_mov_b32 s16, 0
	s_and_not1_b32 exec_lo, exec_lo, s15
	s_cbranch_execz .LBB2_800
.LBB2_728:                              ;   Parent Loop BB2_47 Depth=1
                                        ; =>  This Loop Header: Depth=2
                                        ;       Child Loop BB2_734 Depth 3
                                        ;       Child Loop BB2_762 Depth 3
	;; [unrolled: 1-line block ×3, first 2 shown]
	s_delay_alu instid0(VALU_DEP_1) | instskip(SKIP_2) | instid1(VALU_DEP_2)
	v_sub_nc_u32_e32 v2, v78, v114
	v_and_b32_e32 v8, 12, v30
	s_mov_b32 s17, exec_lo
	v_min_i32_e32 v112, v112, v2
	s_delay_alu instid0(VALU_DEP_2)
	v_cmpx_ne_u32_e32 0, v8
	s_cbranch_execz .LBB2_754
; %bb.729:                              ;   in Loop: Header=BB2_728 Depth=2
	v_and_b32_e32 v2, 8, v30
	v_add_nc_u64_e32 v[8:9], 2, v[98:99]
	s_mov_b32 s20, exec_lo
	s_wait_loadcnt_dscnt 0x1
	s_delay_alu instid0(VALU_DEP_2) | instskip(NEXT) | instid1(VALU_DEP_1)
	v_add_nc_u64_e32 v[10:11], v[28:29], v[2:3]
	v_cmpx_lt_u64_e64 v[10:11], v[8:9]
	s_cbranch_execz .LBB2_741
; %bb.730:                              ;   in Loop: Header=BB2_728 Depth=2
	v_and_b32_e32 v10, 64, v30
	s_mov_b32 s41, 0
	s_mov_b32 s47, 0
                                        ; implicit-def: $sgpr44
                                        ; implicit-def: $sgpr45
                                        ; implicit-def: $sgpr46
	s_delay_alu instid0(VALU_DEP_1)
	v_cmp_eq_u32_e32 vcc_lo, 0, v10
	s_branch .LBB2_734
.LBB2_731:                              ;   in Loop: Header=BB2_734 Depth=3
	s_wait_loadcnt_dscnt 0x0
	v_add_nc_u64_e32 v[116:117], v[28:29], v[2:3]
	s_or_b32 s76, s76, exec_lo
	s_delay_alu instid0(VALU_DEP_1)
	v_cmp_ge_u64_e64 s13, v[116:117], v[8:9]
	s_or_not1_b32 s75, s13, exec_lo
.LBB2_732:                              ;   in Loop: Header=BB2_734 Depth=3
	s_or_b32 exec_lo, exec_lo, s78
	s_delay_alu instid0(SALU_CYCLE_1)
	s_and_not1_b32 s13, s46, exec_lo
	s_and_b32 s46, s76, exec_lo
	s_and_not1_b32 s45, s45, exec_lo
	s_and_b32 s75, s75, exec_lo
	s_or_b32 s46, s13, s46
	s_or_b32 s45, s45, s75
.LBB2_733:                              ;   in Loop: Header=BB2_734 Depth=3
	s_or_b32 exec_lo, exec_lo, s74
	s_delay_alu instid0(SALU_CYCLE_1) | instskip(NEXT) | instid1(SALU_CYCLE_1)
	s_and_b32 s13, exec_lo, s45
	s_or_b32 s41, s13, s41
	s_and_not1_b32 s13, s44, exec_lo
	s_and_b32 s44, s46, exec_lo
	s_delay_alu instid0(SALU_CYCLE_1)
	s_or_b32 s44, s13, s44
	s_and_not1_b32 exec_lo, exec_lo, s41
	s_cbranch_execz .LBB2_738
.LBB2_734:                              ;   Parent Loop BB2_47 Depth=1
                                        ;     Parent Loop BB2_728 Depth=2
                                        ; =>    This Inner Loop Header: Depth=3
	s_sleep 1
	s_wait_loadcnt_dscnt 0x0
	flat_load_b64 v[28:29], v[20:21] scope:SCOPE_SYS
	s_or_b32 s46, s46, exec_lo
	s_or_b32 s45, s45, exec_lo
                                        ; implicit-def: $vgpr10
	s_wait_xcnt 0x0
	s_and_saveexec_b32 s74, vcc_lo
	s_cbranch_execz .LBB2_733
; %bb.735:                              ;   in Loop: Header=BB2_734 Depth=3
	s_cmp_lt_i32 s47, 0x270f
	s_mov_b32 s75, -1
	s_cselect_b32 s77, -1, 0
	s_cmp_gt_i32 s47, 0x270e
	s_cbranch_scc0 .LBB2_737
; %bb.736:                              ;   in Loop: Header=BB2_734 Depth=3
	s_trap 2
	ds_load_b64 v[10:11], v11
	s_and_not1_b32 s47, s77, exec_lo
	s_mov_b32 s76, 0
	s_wait_storecnt 0x0
	s_wait_loadcnt_dscnt 0x0
	flat_load_b32 v10, v[10:11] scope:SCOPE_SYS
	s_wait_loadcnt_dscnt 0x0
	global_inv scope:SCOPE_SYS
	v_cmp_eq_u32_e64 s13, 0, v10
	s_and_b32 s13, s13, exec_lo
	s_delay_alu instid0(SALU_CYCLE_1)
	s_or_b32 s77, s47, s13
	s_mov_b32 s47, 0
	s_and_saveexec_b32 s78, s77
	s_cbranch_execz .LBB2_732
	s_branch .LBB2_731
.LBB2_737:                              ;   in Loop: Header=BB2_734 Depth=3
	s_add_co_i32 s47, s47, 1
	s_mov_b32 s76, -1
                                        ; implicit-def: $vgpr10
	s_and_saveexec_b32 s78, s77
	s_cbranch_execz .LBB2_732
	s_branch .LBB2_731
.LBB2_738:                              ;   in Loop: Header=BB2_728 Depth=2
	s_or_b32 exec_lo, exec_lo, s41
	s_xor_b32 s13, s44, -1
	s_delay_alu instid0(SALU_CYCLE_1) | instskip(NEXT) | instid1(SALU_CYCLE_1)
	s_and_saveexec_b32 s41, s13
	s_xor_b32 s13, exec_lo, s41
	s_cbranch_execz .LBB2_740
; %bb.739:                              ;   in Loop: Header=BB2_728 Depth=2
	v_or_b32_e32 v30, 64, v30
	s_wait_storecnt 0x0
	s_wait_loadcnt_dscnt 0x0
	ds_store_b32 v11, v10
	s_trap 2
.LBB2_740:                              ;   in Loop: Header=BB2_728 Depth=2
	s_or_b32 exec_lo, exec_lo, s13
.LBB2_741:                              ;   in Loop: Header=BB2_728 Depth=2
	s_delay_alu instid0(SALU_CYCLE_1) | instskip(SKIP_2) | instid1(VALU_DEP_1)
	s_or_b32 exec_lo, exec_lo, s20
	v_and_b32_e32 v10, 0x108, v30
	;;#ASMSTART
	s_wakeup
	;;#ASMEND
	v_cmp_ne_u32_e32 vcc_lo, 0x108, v10
	v_and_b32_e32 v10, 7, v98
	s_and_saveexec_b32 s13, vcc_lo
	s_delay_alu instid0(SALU_CYCLE_1)
	s_xor_b32 s13, exec_lo, s13
; %bb.742:                              ;   in Loop: Header=BB2_728 Depth=2
	v_mov_b32_e32 v11, v3
; %bb.743:                              ;   in Loop: Header=BB2_728 Depth=2
	s_and_not1_saveexec_b32 s13, s13
	s_cbranch_execz .LBB2_745
; %bb.744:                              ;   in Loop: Header=BB2_728 Depth=2
	v_dual_ashrrev_i32 v113, 31, v112 :: v_dual_mov_b32 v11, v3
	v_mad_nc_u64_u32 v[98:99], v10, 24, v[6:7]
	s_delay_alu instid0(VALU_DEP_2)
	v_lshlrev_b64_e32 v[116:117], 3, v[112:113]
	flat_store_b64 v[98:99], v[116:117] offset:8
.LBB2_745:                              ;   in Loop: Header=BB2_728 Depth=2
	s_wait_xcnt 0x0
	s_or_b32 exec_lo, exec_lo, s13
	v_and_b32_e32 v98, 0x100, v30
	s_mov_b32 s13, -1
	s_delay_alu instid0(VALU_DEP_1)
	v_cmp_ne_u32_e32 vcc_lo, 0, v98
                                        ; implicit-def: $vgpr98_vgpr99
	s_and_saveexec_b32 s20, vcc_lo
	s_cbranch_execz .LBB2_749
; %bb.746:                              ;   in Loop: Header=BB2_728 Depth=2
	v_mad_nc_u64_u32 v[116:117], v10, 24, v[6:7]
	s_delay_alu instid0(VALU_DEP_1)
	v_mad_u32 v117, v11, 24, v117
	flat_load_b32 v98, v[116:117]
	s_wait_loadcnt_dscnt 0x0
	v_cmp_eq_u32_e64 s13, 1, v98
	v_cmp_ne_u32_e32 vcc_lo, 1, v98
                                        ; implicit-def: $vgpr98_vgpr99
	s_wait_xcnt 0x0
	s_and_saveexec_b32 s41, s13
	s_cbranch_execz .LBB2_748
; %bb.747:                              ;   in Loop: Header=BB2_728 Depth=2
	flat_load_b32 v98, v[116:117] offset:4 scope:SCOPE_SYS
	s_wait_loadcnt_dscnt 0x0
	v_ashrrev_i32_e32 v99, 31, v98
	s_delay_alu instid0(VALU_DEP_1)
	v_lshrrev_b64 v[98:99], 3, v[98:99]
.LBB2_748:                              ;   in Loop: Header=BB2_728 Depth=2
	s_wait_xcnt 0x0
	s_or_b32 exec_lo, exec_lo, s41
	s_delay_alu instid0(SALU_CYCLE_1)
	s_or_not1_b32 s13, vcc_lo, exec_lo
.LBB2_749:                              ;   in Loop: Header=BB2_728 Depth=2
	s_or_b32 exec_lo, exec_lo, s20
	s_and_saveexec_b32 s20, s13
; %bb.750:                              ;   in Loop: Header=BB2_728 Depth=2
	v_mul_u64_e32 v[98:99], v[10:11], v[22:23]
; %bb.751:                              ;   in Loop: Header=BB2_728 Depth=2
	s_or_b32 exec_lo, exec_lo, s20
	v_cmp_eq_u32_e32 vcc_lo, 0, v2
	v_and_b32_e32 v113, 0x2000, v30
	s_delay_alu instid0(VALU_DEP_3) | instskip(SKIP_2) | instid1(VALU_DEP_1)
	v_lshl_add_u64 v[10:11], v[98:99], 3, v[24:25]
	s_mov_b32 s13, exec_lo
	v_cndmask_b32_e32 v2, 0xd0, v76, vcc_lo
	v_add_nc_u32_e32 v2, v0, v2
	ds_store_b64 v2, v[10:11] offset:584
	v_cmpx_ne_u32_e32 0, v113
	s_cbranch_execz .LBB2_753
; %bb.752:                              ;   in Loop: Header=BB2_728 Depth=2
	ds_load_b64 v[10:11], v0 offset:872
	s_wait_dscnt 0x0
	v_add_nc_u64_e32 v[10:11], 1, v[10:11]
	ds_store_b64 v0, v[10:11] offset:872
.LBB2_753:                              ;   in Loop: Header=BB2_728 Depth=2
	s_or_b32 exec_lo, exec_lo, s13
	v_mov_b64_e32 v[98:99], v[8:9]
.LBB2_754:                              ;   in Loop: Header=BB2_728 Depth=2
	s_or_b32 exec_lo, exec_lo, s17
	s_xor_b32 s13, s16, -1
	s_delay_alu instid0(SALU_CYCLE_1) | instskip(NEXT) | instid1(SALU_CYCLE_1)
	s_and_b32 s13, exec_lo, s13
	s_or_b32 s15, s13, s15
	s_and_saveexec_b32 s13, s2
	s_cbranch_execz .LBB2_773
; %bb.755:                              ;   in Loop: Header=BB2_728 Depth=2
	s_and_saveexec_b32 s16, s3
	s_delay_alu instid0(SALU_CYCLE_1)
	s_xor_b32 s16, exec_lo, s16
	s_cbranch_execz .LBB2_770
; %bb.756:                              ;   in Loop: Header=BB2_728 Depth=2
	s_and_saveexec_b32 s17, s6
	s_cbranch_execz .LBB2_769
; %bb.757:                              ;   in Loop: Header=BB2_728 Depth=2
	s_mov_b32 s41, exec_lo
	s_mov_b32 s20, exec_lo
	v_mbcnt_lo_u32_b32 v2, s41, 0
	global_wb scope:SCOPE_DEV
	s_wait_storecnt 0x0
	s_wait_loadcnt_dscnt 0x0
	global_inv scope:SCOPE_DEV
	v_cmpx_eq_u32_e32 0, v2
	s_cbranch_execz .LBB2_759
; %bb.758:                              ;   in Loop: Header=BB2_728 Depth=2
	s_bcnt1_i32_b32 s41, s41
	s_delay_alu instid0(SALU_CYCLE_1)
	v_mov_b32_e32 v2, s41
	s_wait_loadcnt 0x0
	ds_add_u64 v2, v[2:3]
	s_trap 2
.LBB2_759:                              ;   in Loop: Header=BB2_728 Depth=2
	s_or_b32 exec_lo, exec_lo, s20
	s_trap 2
	ds_load_b64 v[8:9], v2
	s_wait_dscnt 0x0
	v_add_nc_u64_e32 v[12:13], v[12:13], v[32:33]
	s_mov_b32 s20, exec_lo
	s_delay_alu instid0(VALU_DEP_1)
	v_cmpx_lt_u64_e64 v[8:9], v[12:13]
	s_cbranch_execz .LBB2_768
; %bb.760:                              ;   in Loop: Header=BB2_728 Depth=2
	s_mov_b32 s41, 0
	s_mov_b32 s46, 0
                                        ; implicit-def: $sgpr44
                                        ; implicit-def: $sgpr45
	s_branch .LBB2_762
.LBB2_761:                              ;   in Loop: Header=BB2_762 Depth=3
	s_or_b32 exec_lo, exec_lo, s74
	s_delay_alu instid0(SALU_CYCLE_1) | instskip(NEXT) | instid1(SALU_CYCLE_1)
	s_and_b32 s47, exec_lo, s75
	s_or_b32 s41, s47, s41
	s_and_not1_b32 s44, s44, exec_lo
	s_and_b32 s47, s45, exec_lo
	s_delay_alu instid0(SALU_CYCLE_1)
	s_or_b32 s44, s44, s47
	s_and_not1_b32 exec_lo, exec_lo, s41
	s_cbranch_execz .LBB2_766
.LBB2_762:                              ;   Parent Loop BB2_47 Depth=1
                                        ;     Parent Loop BB2_728 Depth=2
                                        ; =>    This Inner Loop Header: Depth=3
	s_add_co_i32 s46, s46, 1
	s_delay_alu instid0(SALU_CYCLE_1) | instskip(SKIP_1) | instid1(SALU_CYCLE_1)
	s_cmp_lg_u32 s46, 0x2710
	s_cselect_b32 s47, -1, 0
	s_and_b32 vcc_lo, exec_lo, s47
	s_cbranch_vccz .LBB2_764
; %bb.763:                              ;   in Loop: Header=BB2_762 Depth=3
	s_mov_b32 s75, -1
	s_or_b32 s45, s45, exec_lo
	s_and_saveexec_b32 s74, s47
	s_cbranch_execz .LBB2_761
	s_branch .LBB2_765
.LBB2_764:                              ;   in Loop: Header=BB2_762 Depth=3
	s_trap 2
	ds_load_b64 v[8:9], v2
	s_and_not1_b32 s47, s47, exec_lo
	s_mov_b32 s46, 0
	s_wait_loadcnt_dscnt 0x0
	flat_load_b32 v2, v[8:9] scope:SCOPE_SYS
	s_wait_loadcnt_dscnt 0x0
	global_inv scope:SCOPE_SYS
	v_cmp_eq_u32_e32 vcc_lo, 0, v2
	s_and_b32 s74, vcc_lo, exec_lo
	s_delay_alu instid0(SALU_CYCLE_1)
	s_or_b32 s47, s47, s74
	s_mov_b32 s75, -1
	s_or_b32 s45, s45, exec_lo
	s_and_saveexec_b32 s74, s47
	s_cbranch_execz .LBB2_761
.LBB2_765:                              ;   in Loop: Header=BB2_762 Depth=3
	s_sleep 1
	s_trap 2
	ds_load_b64 v[8:9], v2
	s_wait_dscnt 0x0
	s_and_not1_b32 s45, s45, exec_lo
	v_cmp_ge_u64_e32 vcc_lo, v[8:9], v[12:13]
	s_or_not1_b32 s75, vcc_lo, exec_lo
	s_branch .LBB2_761
.LBB2_766:                              ;   in Loop: Header=BB2_728 Depth=2
	s_or_b32 exec_lo, exec_lo, s41
	s_and_saveexec_b32 s41, s44
	s_delay_alu instid0(SALU_CYCLE_1)
	s_xor_b32 s41, exec_lo, s41
	s_cbranch_execz .LBB2_768
; %bb.767:                              ;   in Loop: Header=BB2_728 Depth=2
	ds_store_b32 v2, v75
	s_trap 2
.LBB2_768:                              ;   in Loop: Header=BB2_728 Depth=2
	s_or_b32 exec_lo, exec_lo, s20
	;;#ASMSTART
	s_wakeup
	;;#ASMEND
.LBB2_769:                              ;   in Loop: Header=BB2_728 Depth=2
	s_or_b32 exec_lo, exec_lo, s17
.LBB2_770:                              ;   in Loop: Header=BB2_728 Depth=2
	s_and_not1_saveexec_b32 s16, s16
	s_cbranch_execz .LBB2_772
; %bb.771:                              ;   in Loop: Header=BB2_728 Depth=2
	global_wb scope:SCOPE_DEV
	s_wait_storecnt 0x0
	s_wait_loadcnt_dscnt 0x0
	global_inv scope:SCOPE_DEV
	s_barrier_signal -1
	s_barrier_wait -1
.LBB2_772:                              ;   in Loop: Header=BB2_728 Depth=2
	s_or_b32 exec_lo, exec_lo, s16
.LBB2_773:                              ;   in Loop: Header=BB2_728 Depth=2
	s_delay_alu instid0(SALU_CYCLE_1) | instskip(SKIP_1) | instid1(SALU_CYCLE_1)
	s_or_b32 exec_lo, exec_lo, s13
                                        ; implicit-def: $vgpr2
	s_and_saveexec_b32 s13, s12
	s_xor_b32 s16, exec_lo, s13
	s_cbranch_execz .LBB2_777
; %bb.774:                              ;   in Loop: Header=BB2_728 Depth=2
	s_trap 2
	ds_load_b32 v2, v8
	v_cmp_lt_i32_e32 vcc_lo, 0, v112
	s_wait_dscnt 0x0
	v_readfirstlane_b32 s13, v2
	v_and_b32_e32 v2, 16, v30
	s_cmp_eq_u32 s13, 0
	s_delay_alu instid0(VALU_DEP_1) | instskip(SKIP_3) | instid1(SALU_CYCLE_1)
	v_cmp_ne_u32_e64 s13, 0, v2
	s_cselect_b32 s17, -1, 0
	v_and_b32_e32 v2, 16, v30
	s_and_b32 s17, vcc_lo, s17
	s_and_b32 s17, s13, s17
	s_delay_alu instid0(SALU_CYCLE_1)
	s_and_saveexec_b32 s13, s17
	s_cbranch_execz .LBB2_776
; %bb.775:                              ;   in Loop: Header=BB2_728 Depth=2
	v_mov_b32_e32 v2, 1
	global_wb scope:SCOPE_SYS
	s_wait_loadcnt 0x0
	s_wait_storecnt 0x0
	global_inv scope:SCOPE_SYS
.LBB2_776:                              ;   in Loop: Header=BB2_728 Depth=2
	s_or_b32 exec_lo, exec_lo, s13
	s_and_not1_saveexec_b32 s13, s16
	s_cbranch_execz .LBB2_796
	s_branch .LBB2_778
.LBB2_777:                              ;   in Loop: Header=BB2_728 Depth=2
	s_and_not1_saveexec_b32 s13, s16
	s_cbranch_execz .LBB2_796
.LBB2_778:                              ;   in Loop: Header=BB2_728 Depth=2
	s_and_saveexec_b32 s16, s3
	s_delay_alu instid0(SALU_CYCLE_1)
	s_xor_b32 s16, exec_lo, s16
	s_cbranch_execz .LBB2_793
; %bb.779:                              ;   in Loop: Header=BB2_728 Depth=2
	s_and_saveexec_b32 s17, s6
	s_cbranch_execz .LBB2_792
; %bb.780:                              ;   in Loop: Header=BB2_728 Depth=2
	s_mov_b32 s41, exec_lo
	s_mov_b32 s20, exec_lo
	v_mbcnt_lo_u32_b32 v2, s41, 0
	;;#ASMSTART
	s_waitcnt lgkmcnt(0) vmcnt(0)
	;;#ASMEND
	s_delay_alu instid0(VALU_DEP_1)
	v_cmpx_eq_u32_e32 0, v2
	s_cbranch_execz .LBB2_782
; %bb.781:                              ;   in Loop: Header=BB2_728 Depth=2
	s_bcnt1_i32_b32 s41, s41
	s_delay_alu instid0(SALU_CYCLE_1)
	v_mov_b32_e32 v2, s41
	s_wait_storecnt 0x0
	s_wait_loadcnt_dscnt 0x0
	ds_add_u64 v2, v[2:3]
	s_trap 2
.LBB2_782:                              ;   in Loop: Header=BB2_728 Depth=2
	s_or_b32 exec_lo, exec_lo, s20
	s_trap 2
	ds_load_b64 v[8:9], v2
	s_wait_dscnt 0x0
	v_add_nc_u64_e32 v[12:13], v[12:13], v[32:33]
	s_mov_b32 s20, exec_lo
	s_delay_alu instid0(VALU_DEP_1)
	v_cmpx_lt_u64_e64 v[8:9], v[12:13]
	s_cbranch_execz .LBB2_791
; %bb.783:                              ;   in Loop: Header=BB2_728 Depth=2
	s_mov_b32 s41, 0
	s_mov_b32 s46, 0
                                        ; implicit-def: $sgpr44
                                        ; implicit-def: $sgpr45
	s_branch .LBB2_785
.LBB2_784:                              ;   in Loop: Header=BB2_785 Depth=3
	s_or_b32 exec_lo, exec_lo, s74
	s_delay_alu instid0(SALU_CYCLE_1) | instskip(NEXT) | instid1(SALU_CYCLE_1)
	s_and_b32 s47, exec_lo, s75
	s_or_b32 s41, s47, s41
	s_and_not1_b32 s44, s44, exec_lo
	s_and_b32 s47, s45, exec_lo
	s_delay_alu instid0(SALU_CYCLE_1)
	s_or_b32 s44, s44, s47
	s_and_not1_b32 exec_lo, exec_lo, s41
	s_cbranch_execz .LBB2_789
.LBB2_785:                              ;   Parent Loop BB2_47 Depth=1
                                        ;     Parent Loop BB2_728 Depth=2
                                        ; =>    This Inner Loop Header: Depth=3
	s_add_co_i32 s46, s46, 1
	s_delay_alu instid0(SALU_CYCLE_1) | instskip(SKIP_1) | instid1(SALU_CYCLE_1)
	s_cmp_lg_u32 s46, 0x2710
	s_cselect_b32 s47, -1, 0
	s_and_b32 vcc_lo, exec_lo, s47
	s_cbranch_vccz .LBB2_787
; %bb.786:                              ;   in Loop: Header=BB2_785 Depth=3
	s_mov_b32 s75, -1
	s_or_b32 s45, s45, exec_lo
	s_and_saveexec_b32 s74, s47
	s_cbranch_execz .LBB2_784
	s_branch .LBB2_788
.LBB2_787:                              ;   in Loop: Header=BB2_785 Depth=3
	s_trap 2
	ds_load_b64 v[8:9], v2
	s_and_not1_b32 s47, s47, exec_lo
	s_mov_b32 s46, 0
	s_wait_storecnt 0x0
	s_wait_loadcnt_dscnt 0x0
	flat_load_b32 v2, v[8:9] scope:SCOPE_SYS
	s_wait_loadcnt_dscnt 0x0
	global_inv scope:SCOPE_SYS
	v_cmp_eq_u32_e32 vcc_lo, 0, v2
	s_and_b32 s74, vcc_lo, exec_lo
	s_delay_alu instid0(SALU_CYCLE_1)
	s_or_b32 s47, s47, s74
	s_mov_b32 s75, -1
	s_or_b32 s45, s45, exec_lo
	s_and_saveexec_b32 s74, s47
	s_cbranch_execz .LBB2_784
.LBB2_788:                              ;   in Loop: Header=BB2_785 Depth=3
	s_sleep 1
	s_trap 2
	ds_load_b64 v[8:9], v2
	s_wait_dscnt 0x0
	s_and_not1_b32 s45, s45, exec_lo
	v_cmp_ge_u64_e32 vcc_lo, v[8:9], v[12:13]
	s_or_not1_b32 s75, vcc_lo, exec_lo
	s_branch .LBB2_784
.LBB2_789:                              ;   in Loop: Header=BB2_728 Depth=2
	s_or_b32 exec_lo, exec_lo, s41
	s_and_saveexec_b32 s41, s44
	s_delay_alu instid0(SALU_CYCLE_1)
	s_xor_b32 s41, exec_lo, s41
	s_cbranch_execz .LBB2_791
; %bb.790:                              ;   in Loop: Header=BB2_728 Depth=2
	ds_store_b32 v2, v75
	s_trap 2
.LBB2_791:                              ;   in Loop: Header=BB2_728 Depth=2
	s_or_b32 exec_lo, exec_lo, s20
	;;#ASMSTART
	s_wakeup
	;;#ASMEND
.LBB2_792:                              ;   in Loop: Header=BB2_728 Depth=2
	s_or_b32 exec_lo, exec_lo, s17
.LBB2_793:                              ;   in Loop: Header=BB2_728 Depth=2
	s_and_not1_saveexec_b32 s16, s16
	s_cbranch_execz .LBB2_795
; %bb.794:                              ;   in Loop: Header=BB2_728 Depth=2
	;;#ASMSTART
	s_waitcnt lgkmcnt(0) vmcnt(0)
	;;#ASMEND
	s_barrier_signal -1
	s_barrier_wait -1
.LBB2_795:                              ;   in Loop: Header=BB2_728 Depth=2
	s_or_b32 exec_lo, exec_lo, s16
	v_and_b32_e32 v2, 16, v30
.LBB2_796:                              ;   in Loop: Header=BB2_728 Depth=2
	s_or_b32 exec_lo, exec_lo, s13
	s_delay_alu instid0(VALU_DEP_1) | instskip(SKIP_1) | instid1(SALU_CYCLE_1)
	v_cmp_ne_u32_e32 vcc_lo, 0, v2
	s_xor_b32 s13, s4, -1
	s_and_b32 s16, vcc_lo, s13
	s_delay_alu instid0(SALU_CYCLE_1)
	s_and_saveexec_b32 s13, s16
	s_cbranch_execz .LBB2_798
; %bb.797:                              ;   in Loop: Header=BB2_728 Depth=2
	global_wb scope:SCOPE_SYS
	s_wait_storecnt 0x0
	s_wait_loadcnt_dscnt 0x0
	flat_store_b32 v[26:27], v75 scope:SCOPE_SYS
.LBB2_798:                              ;   in Loop: Header=BB2_728 Depth=2
	s_wait_xcnt 0x0
	s_or_b32 exec_lo, exec_lo, s13
	v_and_b32_e32 v2, 48, v30
	s_mov_b32 s13, exec_lo
	s_delay_alu instid0(VALU_DEP_1)
	v_cmpx_ne_u32_e32 0, v2
	s_cbranch_execz .LBB2_727
; %bb.799:                              ;   in Loop: Header=BB2_728 Depth=2
	v_add_nc_u64_e32 v[98:99], 2, v[98:99]
	global_wb scope:SCOPE_SYS
	s_wait_storecnt 0x0
	s_wait_loadcnt_dscnt 0x0
	flat_store_b64 v[20:21], v[98:99] scope:SCOPE_SYS
	s_branch .LBB2_727
.LBB2_800:                              ;   in Loop: Header=BB2_47 Depth=1
	s_or_b32 exec_lo, exec_lo, s15
.LBB2_801:                              ;   in Loop: Header=BB2_47 Depth=1
	s_delay_alu instid0(SALU_CYCLE_1) | instskip(NEXT) | instid1(SALU_CYCLE_1)
	s_or_b32 exec_lo, exec_lo, s14
	s_and_not1_b32 vcc_lo, exec_lo, s60
	s_cbranch_vccnz .LBB2_1066
; %bb.802:                              ;   in Loop: Header=BB2_47 Depth=1
	s_mov_b32 s20, 1
.LBB2_803:                              ;   Parent Loop BB2_47 Depth=1
                                        ; =>  This Loop Header: Depth=2
                                        ;       Child Loop BB2_806 Depth 3
                                        ;         Child Loop BB2_814 Depth 4
                                        ;         Child Loop BB2_842 Depth 4
	;; [unrolled: 1-line block ×4, first 2 shown]
                                        ;           Child Loop BB2_889 Depth 5
                                        ;         Child Loop BB2_895 Depth 4
                                        ;           Child Loop BB2_896 Depth 5
                                        ;         Child Loop BB2_905 Depth 4
	;; [unrolled: 2-line block ×4, first 2 shown]
                                        ;         Child Loop BB2_930 Depth 4
                                        ;         Child Loop BB2_938 Depth 4
                                        ;         Child Loop BB2_943 Depth 4
                                        ;         Child Loop BB2_953 Depth 4
                                        ;         Child Loop BB2_972 Depth 4
                                        ;       Child Loop BB2_991 Depth 3
                                        ;         Child Loop BB2_997 Depth 4
                                        ;         Child Loop BB2_1025 Depth 4
	;; [unrolled: 1-line block ×3, first 2 shown]
	s_delay_alu instid0(SALU_CYCLE_1) | instskip(SKIP_4) | instid1(SALU_CYCLE_1)
	s_sub_co_i32 s13, s58, s20
	s_mov_b32 s44, 0
	s_cmp_ge_i32 s13, s18
	v_mov_b32_e32 v114, 0
	s_cselect_b32 s14, s18, 0
	s_sub_co_i32 s14, s13, s14
	s_delay_alu instid0(SALU_CYCLE_1) | instskip(NEXT) | instid1(SALU_CYCLE_1)
	s_ashr_i32 s15, s14, 31
	v_mul_u64_e32 v[8:9], s[14:15], v[96:97]
	s_delay_alu instid0(VALU_DEP_1) | instskip(NEXT) | instid1(VALU_DEP_1)
	v_sub_nc_u64_e32 v[10:11], v[100:101], v[8:9]
	v_min_i64 v[10:11], v[96:97], v[10:11]
	s_delay_alu instid0(VALU_DEP_1) | instskip(SKIP_1) | instid1(VALU_DEP_2)
	v_max_i32_e32 v58, 0, v10
	v_cmp_lt_i32_e32 vcc_lo, 0, v10
	v_add_nc_u32_e32 v2, 31, v58
	s_and_b32 s13, s63, vcc_lo
	s_delay_alu instid0(VALU_DEP_1) | instskip(NEXT) | instid1(VALU_DEP_1)
	v_lshrrev_b32_e32 v2, 1, v2
	v_and_b32_e32 v11, 0x3ffffff0, v2
	s_delay_alu instid0(VALU_DEP_1)
	v_dual_mov_b32 v2, 0 :: v_dual_max_i32 v112, s59, v11
	s_and_saveexec_b32 s41, s13
	s_cbranch_execz .LBB2_988
; %bb.804:                              ;   in Loop: Header=BB2_803 Depth=2
	v_add_nc_u64_e32 v[8:9], v[8:9], v[102:103]
	v_mov_b32_e32 v114, 0
	s_mov_b32 s46, 1
	s_mov_b32 s45, -1
	s_delay_alu instid0(VALU_DEP_2)
	v_lshlrev_b64_e32 v[116:117], 3, v[8:9]
	s_branch .LBB2_806
.LBB2_805:                              ;   in Loop: Header=BB2_806 Depth=3
	s_wait_xcnt 0x0
	s_or_b32 exec_lo, exec_lo, s13
	v_dual_add_nc_u32 v114, v112, v114 :: v_dual_mov_b32 v2, s46
	s_xor_b32 s13, s45, -1
	s_mov_b32 s45, 0
	s_mov_b32 s46, 2
	s_delay_alu instid0(VALU_DEP_1) | instskip(SKIP_1) | instid1(SALU_CYCLE_1)
	v_cmp_ge_i32_e32 vcc_lo, v114, v58
	s_or_b32 s13, s13, vcc_lo
	s_and_b32 s13, exec_lo, s13
	s_delay_alu instid0(SALU_CYCLE_1) | instskip(NEXT) | instid1(SALU_CYCLE_1)
	s_or_b32 s44, s13, s44
	s_and_not1_b32 exec_lo, exec_lo, s44
	s_cbranch_execz .LBB2_987
.LBB2_806:                              ;   Parent Loop BB2_47 Depth=1
                                        ;     Parent Loop BB2_803 Depth=2
                                        ; =>    This Loop Header: Depth=3
                                        ;         Child Loop BB2_814 Depth 4
                                        ;         Child Loop BB2_842 Depth 4
	;; [unrolled: 1-line block ×4, first 2 shown]
                                        ;           Child Loop BB2_889 Depth 5
                                        ;         Child Loop BB2_895 Depth 4
                                        ;           Child Loop BB2_896 Depth 5
                                        ;         Child Loop BB2_905 Depth 4
	;; [unrolled: 2-line block ×4, first 2 shown]
                                        ;         Child Loop BB2_930 Depth 4
                                        ;         Child Loop BB2_938 Depth 4
	;; [unrolled: 1-line block ×5, first 2 shown]
	s_and_saveexec_b32 s13, s0
	s_cbranch_execz .LBB2_808
; %bb.807:                              ;   in Loop: Header=BB2_806 Depth=3
	s_trap 2
	ds_load_b128 v[8:11], v2
	s_wait_dscnt 0x0
	v_cmp_ne_u64_e32 vcc_lo, 0, v[10:11]
	v_ashrrev_i32_e32 v115, 31, v114
	v_add_nc_u64_e32 v[40:41], v[10:11], v[116:117]
	v_add_nc_u64_e32 v[8:9], v[8:9], v[116:117]
	s_delay_alu instid0(VALU_DEP_3) | instskip(NEXT) | instid1(VALU_DEP_1)
	v_lshlrev_b64_e32 v[118:119], 3, v[114:115]
	v_add_nc_u64_e32 v[40:41], v[40:41], v[118:119]
	s_delay_alu instid0(VALU_DEP_3) | instskip(NEXT) | instid1(VALU_DEP_2)
	v_add_nc_u64_e32 v[8:9], v[8:9], v[118:119]
	v_dual_cndmask_b32 v11, 0, v41 :: v_dual_cndmask_b32 v10, 0, v40
	ds_store_b64 v2, v[8:9]
	ds_store_b64 v2, v[10:11]
.LBB2_808:                              ;   in Loop: Header=BB2_806 Depth=3
	s_or_b32 exec_lo, exec_lo, s13
	v_sub_nc_u32_e32 v2, v58, v114
	v_and_b32_e32 v8, 12, v30
	s_mov_b32 s14, exec_lo
	s_delay_alu instid0(VALU_DEP_2) | instskip(NEXT) | instid1(VALU_DEP_2)
	v_min_i32_e32 v112, v112, v2
	v_cmpx_ne_u32_e32 0, v8
	s_cbranch_execz .LBB2_834
; %bb.809:                              ;   in Loop: Header=BB2_806 Depth=3
	v_and_b32_e32 v2, 8, v30
	v_add_nc_u64_e32 v[8:9], 2, v[98:99]
	s_mov_b32 s15, exec_lo
	s_wait_loadcnt_dscnt 0x1
	s_delay_alu instid0(VALU_DEP_2) | instskip(NEXT) | instid1(VALU_DEP_1)
	v_add_nc_u64_e32 v[10:11], v[28:29], v[2:3]
	v_cmpx_lt_u64_e64 v[10:11], v[8:9]
	s_cbranch_execz .LBB2_821
; %bb.810:                              ;   in Loop: Header=BB2_806 Depth=3
	v_and_b32_e32 v10, 64, v30
	s_mov_b32 s16, 0
	s_mov_b32 s75, 0
                                        ; implicit-def: $sgpr17
                                        ; implicit-def: $sgpr47
                                        ; implicit-def: $sgpr74
	s_delay_alu instid0(VALU_DEP_1)
	v_cmp_eq_u32_e32 vcc_lo, 0, v10
	s_branch .LBB2_814
.LBB2_811:                              ;   in Loop: Header=BB2_814 Depth=4
	s_wait_loadcnt_dscnt 0x0
	v_add_nc_u64_e32 v[118:119], v[28:29], v[2:3]
	s_or_b32 s78, s78, exec_lo
	s_delay_alu instid0(VALU_DEP_1)
	v_cmp_ge_u64_e64 s13, v[118:119], v[8:9]
	s_or_not1_b32 s77, s13, exec_lo
.LBB2_812:                              ;   in Loop: Header=BB2_814 Depth=4
	s_or_b32 exec_lo, exec_lo, s88
	s_delay_alu instid0(SALU_CYCLE_1)
	s_and_not1_b32 s13, s74, exec_lo
	s_and_b32 s74, s78, exec_lo
	s_and_not1_b32 s47, s47, exec_lo
	s_and_b32 s77, s77, exec_lo
	s_or_b32 s74, s13, s74
	s_or_b32 s47, s47, s77
.LBB2_813:                              ;   in Loop: Header=BB2_814 Depth=4
	s_or_b32 exec_lo, exec_lo, s76
	s_delay_alu instid0(SALU_CYCLE_1) | instskip(NEXT) | instid1(SALU_CYCLE_1)
	s_and_b32 s13, exec_lo, s47
	s_or_b32 s16, s13, s16
	s_and_not1_b32 s13, s17, exec_lo
	s_and_b32 s17, s74, exec_lo
	s_delay_alu instid0(SALU_CYCLE_1)
	s_or_b32 s17, s13, s17
	s_and_not1_b32 exec_lo, exec_lo, s16
	s_cbranch_execz .LBB2_818
.LBB2_814:                              ;   Parent Loop BB2_47 Depth=1
                                        ;     Parent Loop BB2_803 Depth=2
                                        ;       Parent Loop BB2_806 Depth=3
                                        ; =>      This Inner Loop Header: Depth=4
	s_sleep 1
	s_wait_loadcnt_dscnt 0x0
	flat_load_b64 v[28:29], v[20:21] scope:SCOPE_SYS
	s_or_b32 s74, s74, exec_lo
	s_or_b32 s47, s47, exec_lo
                                        ; implicit-def: $vgpr10
	s_wait_xcnt 0x0
	s_and_saveexec_b32 s76, vcc_lo
	s_cbranch_execz .LBB2_813
; %bb.815:                              ;   in Loop: Header=BB2_814 Depth=4
	s_cmp_lt_i32 s75, 0x270f
	s_mov_b32 s77, -1
	s_cselect_b32 s79, -1, 0
	s_cmp_gt_i32 s75, 0x270e
	s_cbranch_scc0 .LBB2_817
; %bb.816:                              ;   in Loop: Header=BB2_814 Depth=4
	s_trap 2
	ds_load_b64 v[10:11], v11
	s_and_not1_b32 s75, s79, exec_lo
	s_mov_b32 s78, 0
	s_wait_storecnt 0x0
	s_wait_loadcnt_dscnt 0x0
	flat_load_b32 v10, v[10:11] scope:SCOPE_SYS
	s_wait_loadcnt_dscnt 0x0
	global_inv scope:SCOPE_SYS
	v_cmp_eq_u32_e64 s13, 0, v10
	s_and_b32 s13, s13, exec_lo
	s_delay_alu instid0(SALU_CYCLE_1)
	s_or_b32 s79, s75, s13
	s_mov_b32 s75, 0
	s_and_saveexec_b32 s88, s79
	s_cbranch_execz .LBB2_812
	s_branch .LBB2_811
.LBB2_817:                              ;   in Loop: Header=BB2_814 Depth=4
	s_add_co_i32 s75, s75, 1
	s_mov_b32 s78, -1
                                        ; implicit-def: $vgpr10
	s_and_saveexec_b32 s88, s79
	s_cbranch_execz .LBB2_812
	s_branch .LBB2_811
.LBB2_818:                              ;   in Loop: Header=BB2_806 Depth=3
	s_or_b32 exec_lo, exec_lo, s16
	s_xor_b32 s13, s17, -1
	s_delay_alu instid0(SALU_CYCLE_1) | instskip(NEXT) | instid1(SALU_CYCLE_1)
	s_and_saveexec_b32 s16, s13
	s_xor_b32 s13, exec_lo, s16
	s_cbranch_execz .LBB2_820
; %bb.819:                              ;   in Loop: Header=BB2_806 Depth=3
	v_or_b32_e32 v30, 64, v30
	s_wait_storecnt 0x0
	s_wait_loadcnt_dscnt 0x0
	ds_store_b32 v11, v10
	s_trap 2
.LBB2_820:                              ;   in Loop: Header=BB2_806 Depth=3
	s_or_b32 exec_lo, exec_lo, s13
.LBB2_821:                              ;   in Loop: Header=BB2_806 Depth=3
	s_delay_alu instid0(SALU_CYCLE_1) | instskip(SKIP_2) | instid1(VALU_DEP_1)
	s_or_b32 exec_lo, exec_lo, s15
	v_and_b32_e32 v10, 0x108, v30
	;;#ASMSTART
	s_wakeup
	;;#ASMEND
	v_cmp_ne_u32_e32 vcc_lo, 0x108, v10
                                        ; implicit-def: $vgpr10_vgpr11
	s_and_saveexec_b32 s13, vcc_lo
	s_delay_alu instid0(SALU_CYCLE_1)
	s_xor_b32 s13, exec_lo, s13
; %bb.822:                              ;   in Loop: Header=BB2_806 Depth=3
	v_dual_mov_b32 v11, v3 :: v_dual_bitop2_b32 v10, 7, v98 bitop3:0x40
                                        ; implicit-def: $vgpr98_vgpr99
; %bb.823:                              ;   in Loop: Header=BB2_806 Depth=3
	s_and_not1_saveexec_b32 s13, s13
	s_cbranch_execz .LBB2_825
; %bb.824:                              ;   in Loop: Header=BB2_806 Depth=3
	v_dual_ashrrev_i32 v113, 31, v112 :: v_dual_bitop2_b32 v10, 7, v98 bitop3:0x40
	v_mov_b32_e32 v11, v3
	s_delay_alu instid0(VALU_DEP_2) | instskip(NEXT) | instid1(VALU_DEP_3)
	v_mad_nc_u64_u32 v[98:99], v10, 24, v[6:7]
	v_lshlrev_b64_e32 v[118:119], 3, v[112:113]
	flat_store_b64 v[98:99], v[118:119] offset:8
.LBB2_825:                              ;   in Loop: Header=BB2_806 Depth=3
	s_wait_xcnt 0x0
	s_or_b32 exec_lo, exec_lo, s13
	v_and_b32_e32 v98, 0x100, v30
	s_mov_b32 s13, -1
	s_delay_alu instid0(VALU_DEP_1)
	v_cmp_ne_u32_e32 vcc_lo, 0, v98
                                        ; implicit-def: $vgpr98_vgpr99
	s_and_saveexec_b32 s15, vcc_lo
	s_cbranch_execz .LBB2_829
; %bb.826:                              ;   in Loop: Header=BB2_806 Depth=3
	v_mad_nc_u64_u32 v[118:119], v10, 24, v[6:7]
	s_delay_alu instid0(VALU_DEP_1)
	v_mad_u32 v119, v11, 24, v119
	flat_load_b32 v98, v[118:119]
	s_wait_loadcnt_dscnt 0x0
	v_cmp_eq_u32_e64 s13, 1, v98
	v_cmp_ne_u32_e32 vcc_lo, 1, v98
                                        ; implicit-def: $vgpr98_vgpr99
	s_wait_xcnt 0x0
	s_and_saveexec_b32 s16, s13
	s_cbranch_execz .LBB2_828
; %bb.827:                              ;   in Loop: Header=BB2_806 Depth=3
	flat_load_b32 v98, v[118:119] offset:4 scope:SCOPE_SYS
	s_wait_loadcnt_dscnt 0x0
	v_ashrrev_i32_e32 v99, 31, v98
	s_delay_alu instid0(VALU_DEP_1)
	v_lshrrev_b64 v[98:99], 3, v[98:99]
.LBB2_828:                              ;   in Loop: Header=BB2_806 Depth=3
	s_wait_xcnt 0x0
	s_or_b32 exec_lo, exec_lo, s16
	s_delay_alu instid0(SALU_CYCLE_1)
	s_or_not1_b32 s13, vcc_lo, exec_lo
.LBB2_829:                              ;   in Loop: Header=BB2_806 Depth=3
	s_or_b32 exec_lo, exec_lo, s15
	s_and_saveexec_b32 s15, s13
; %bb.830:                              ;   in Loop: Header=BB2_806 Depth=3
	v_mul_u64_e32 v[98:99], v[10:11], v[22:23]
; %bb.831:                              ;   in Loop: Header=BB2_806 Depth=3
	s_or_b32 exec_lo, exec_lo, s15
	v_cmp_eq_u32_e32 vcc_lo, 0, v2
	v_and_b32_e32 v113, 0x2000, v30
	s_delay_alu instid0(VALU_DEP_3) | instskip(SKIP_2) | instid1(VALU_DEP_1)
	v_lshl_add_u64 v[10:11], v[98:99], 3, v[24:25]
	s_mov_b32 s13, exec_lo
	v_cndmask_b32_e32 v2, 0xd0, v77, vcc_lo
	v_add_nc_u32_e32 v2, v0, v2
	ds_store_b64 v2, v[10:11] offset:584
	v_cmpx_ne_u32_e32 0, v113
	s_cbranch_execz .LBB2_833
; %bb.832:                              ;   in Loop: Header=BB2_806 Depth=3
	ds_load_b64 v[10:11], v0 offset:872
	s_wait_dscnt 0x0
	v_add_nc_u64_e32 v[10:11], 1, v[10:11]
	ds_store_b64 v0, v[10:11] offset:872
.LBB2_833:                              ;   in Loop: Header=BB2_806 Depth=3
	s_or_b32 exec_lo, exec_lo, s13
	v_mov_b64_e32 v[98:99], v[8:9]
.LBB2_834:                              ;   in Loop: Header=BB2_806 Depth=3
	s_or_b32 exec_lo, exec_lo, s14
	s_and_saveexec_b32 s13, s2
	s_cbranch_execz .LBB2_853
; %bb.835:                              ;   in Loop: Header=BB2_806 Depth=3
	s_and_saveexec_b32 s14, s3
	s_delay_alu instid0(SALU_CYCLE_1)
	s_xor_b32 s14, exec_lo, s14
	s_cbranch_execz .LBB2_850
; %bb.836:                              ;   in Loop: Header=BB2_806 Depth=3
	s_and_saveexec_b32 s15, s6
	s_cbranch_execz .LBB2_849
; %bb.837:                              ;   in Loop: Header=BB2_806 Depth=3
	s_mov_b32 s17, exec_lo
	s_mov_b32 s16, exec_lo
	v_mbcnt_lo_u32_b32 v2, s17, 0
	global_wb scope:SCOPE_DEV
	s_wait_storecnt 0x0
	s_wait_loadcnt_dscnt 0x0
	global_inv scope:SCOPE_DEV
	v_cmpx_eq_u32_e32 0, v2
	s_cbranch_execz .LBB2_839
; %bb.838:                              ;   in Loop: Header=BB2_806 Depth=3
	s_bcnt1_i32_b32 s17, s17
	s_delay_alu instid0(SALU_CYCLE_1)
	v_mov_b32_e32 v2, s17
	s_wait_loadcnt 0x0
	ds_add_u64 v2, v[2:3]
	s_trap 2
.LBB2_839:                              ;   in Loop: Header=BB2_806 Depth=3
	s_or_b32 exec_lo, exec_lo, s16
	s_trap 2
	ds_load_b64 v[8:9], v2
	s_wait_dscnt 0x0
	v_add_nc_u64_e32 v[12:13], v[12:13], v[32:33]
	s_mov_b32 s16, exec_lo
	s_delay_alu instid0(VALU_DEP_1)
	v_cmpx_lt_u64_e64 v[8:9], v[12:13]
	s_cbranch_execz .LBB2_848
; %bb.840:                              ;   in Loop: Header=BB2_806 Depth=3
	s_mov_b32 s17, 0
	s_mov_b32 s75, 0
                                        ; implicit-def: $sgpr47
                                        ; implicit-def: $sgpr74
	s_branch .LBB2_842
.LBB2_841:                              ;   in Loop: Header=BB2_842 Depth=4
	s_or_b32 exec_lo, exec_lo, s77
	s_delay_alu instid0(SALU_CYCLE_1) | instskip(NEXT) | instid1(SALU_CYCLE_1)
	s_and_b32 s76, exec_lo, s78
	s_or_b32 s17, s76, s17
	s_and_not1_b32 s47, s47, exec_lo
	s_and_b32 s76, s74, exec_lo
	s_delay_alu instid0(SALU_CYCLE_1)
	s_or_b32 s47, s47, s76
	s_and_not1_b32 exec_lo, exec_lo, s17
	s_cbranch_execz .LBB2_846
.LBB2_842:                              ;   Parent Loop BB2_47 Depth=1
                                        ;     Parent Loop BB2_803 Depth=2
                                        ;       Parent Loop BB2_806 Depth=3
                                        ; =>      This Inner Loop Header: Depth=4
	s_add_co_i32 s75, s75, 1
	s_delay_alu instid0(SALU_CYCLE_1) | instskip(SKIP_1) | instid1(SALU_CYCLE_1)
	s_cmp_lg_u32 s75, 0x2710
	s_cselect_b32 s76, -1, 0
	s_and_b32 vcc_lo, exec_lo, s76
	s_cbranch_vccz .LBB2_844
; %bb.843:                              ;   in Loop: Header=BB2_842 Depth=4
	s_mov_b32 s78, -1
	s_or_b32 s74, s74, exec_lo
	s_and_saveexec_b32 s77, s76
	s_cbranch_execz .LBB2_841
	s_branch .LBB2_845
.LBB2_844:                              ;   in Loop: Header=BB2_842 Depth=4
	s_trap 2
	ds_load_b64 v[8:9], v2
	s_and_not1_b32 s76, s76, exec_lo
	s_mov_b32 s75, 0
	s_wait_loadcnt_dscnt 0x0
	flat_load_b32 v2, v[8:9] scope:SCOPE_SYS
	s_wait_loadcnt_dscnt 0x0
	global_inv scope:SCOPE_SYS
	v_cmp_eq_u32_e32 vcc_lo, 0, v2
	s_and_b32 s77, vcc_lo, exec_lo
	s_delay_alu instid0(SALU_CYCLE_1)
	s_or_b32 s76, s76, s77
	s_mov_b32 s78, -1
	s_or_b32 s74, s74, exec_lo
	s_and_saveexec_b32 s77, s76
	s_cbranch_execz .LBB2_841
.LBB2_845:                              ;   in Loop: Header=BB2_842 Depth=4
	s_sleep 1
	s_trap 2
	ds_load_b64 v[8:9], v2
	s_wait_dscnt 0x0
	s_and_not1_b32 s74, s74, exec_lo
	v_cmp_ge_u64_e32 vcc_lo, v[8:9], v[12:13]
	s_or_not1_b32 s78, vcc_lo, exec_lo
	s_branch .LBB2_841
.LBB2_846:                              ;   in Loop: Header=BB2_806 Depth=3
	s_or_b32 exec_lo, exec_lo, s17
	s_and_saveexec_b32 s17, s47
	s_delay_alu instid0(SALU_CYCLE_1)
	s_xor_b32 s17, exec_lo, s17
	s_cbranch_execz .LBB2_848
; %bb.847:                              ;   in Loop: Header=BB2_806 Depth=3
	ds_store_b32 v2, v75
	s_trap 2
.LBB2_848:                              ;   in Loop: Header=BB2_806 Depth=3
	s_or_b32 exec_lo, exec_lo, s16
	;;#ASMSTART
	s_wakeup
	;;#ASMEND
.LBB2_849:                              ;   in Loop: Header=BB2_806 Depth=3
	s_or_b32 exec_lo, exec_lo, s15
.LBB2_850:                              ;   in Loop: Header=BB2_806 Depth=3
	s_and_not1_saveexec_b32 s14, s14
	s_cbranch_execz .LBB2_852
; %bb.851:                              ;   in Loop: Header=BB2_806 Depth=3
	global_wb scope:SCOPE_DEV
	s_wait_storecnt 0x0
	s_wait_loadcnt_dscnt 0x0
	global_inv scope:SCOPE_DEV
	s_barrier_signal -1
	s_barrier_wait -1
.LBB2_852:                              ;   in Loop: Header=BB2_806 Depth=3
	s_or_b32 exec_lo, exec_lo, s14
.LBB2_853:                              ;   in Loop: Header=BB2_806 Depth=3
	s_delay_alu instid0(SALU_CYCLE_1) | instskip(SKIP_4) | instid1(VALU_DEP_1)
	s_or_b32 exec_lo, exec_lo, s13
	s_trap 2
	ds_load_b32 v8, v2
	v_and_b32_e32 v2, 0x4000, v30
	s_xor_b32 s13, s1, -1
	v_cmp_ne_u32_e32 vcc_lo, 0, v2
	s_and_b32 s14, s13, vcc_lo
	s_delay_alu instid0(SALU_CYCLE_1)
	s_and_saveexec_b32 s13, s14
	s_cbranch_execz .LBB2_872
; %bb.854:                              ;   in Loop: Header=BB2_806 Depth=3
	s_and_saveexec_b32 s14, s3
	s_delay_alu instid0(SALU_CYCLE_1)
	s_xor_b32 s14, exec_lo, s14
	s_cbranch_execz .LBB2_869
; %bb.855:                              ;   in Loop: Header=BB2_806 Depth=3
	s_and_saveexec_b32 s15, s6
	s_cbranch_execz .LBB2_868
; %bb.856:                              ;   in Loop: Header=BB2_806 Depth=3
	s_mov_b32 s17, exec_lo
	s_mov_b32 s16, exec_lo
	v_mbcnt_lo_u32_b32 v2, s17, 0
	global_wb scope:SCOPE_DEV
	s_wait_storecnt 0x0
	s_wait_loadcnt_dscnt 0x0
	global_inv scope:SCOPE_DEV
	v_cmpx_eq_u32_e32 0, v2
	s_cbranch_execz .LBB2_858
; %bb.857:                              ;   in Loop: Header=BB2_806 Depth=3
	s_bcnt1_i32_b32 s17, s17
	s_delay_alu instid0(SALU_CYCLE_1)
	v_mov_b32_e32 v2, s17
	s_wait_loadcnt 0x0
	ds_add_u64 v2, v[2:3]
	s_trap 2
.LBB2_858:                              ;   in Loop: Header=BB2_806 Depth=3
	s_or_b32 exec_lo, exec_lo, s16
	s_trap 2
	ds_load_b64 v[10:11], v2
	s_wait_dscnt 0x0
	v_add_nc_u64_e32 v[12:13], v[12:13], v[32:33]
	s_mov_b32 s16, exec_lo
	s_delay_alu instid0(VALU_DEP_1)
	v_cmpx_lt_u64_e64 v[10:11], v[12:13]
	s_cbranch_execz .LBB2_867
; %bb.859:                              ;   in Loop: Header=BB2_806 Depth=3
	s_mov_b32 s17, 0
	s_mov_b32 s75, 0
                                        ; implicit-def: $sgpr47
                                        ; implicit-def: $sgpr74
	s_branch .LBB2_861
.LBB2_860:                              ;   in Loop: Header=BB2_861 Depth=4
	s_or_b32 exec_lo, exec_lo, s77
	s_delay_alu instid0(SALU_CYCLE_1) | instskip(NEXT) | instid1(SALU_CYCLE_1)
	s_and_b32 s76, exec_lo, s78
	s_or_b32 s17, s76, s17
	s_and_not1_b32 s47, s47, exec_lo
	s_and_b32 s76, s74, exec_lo
	s_delay_alu instid0(SALU_CYCLE_1)
	s_or_b32 s47, s47, s76
	s_and_not1_b32 exec_lo, exec_lo, s17
	s_cbranch_execz .LBB2_865
.LBB2_861:                              ;   Parent Loop BB2_47 Depth=1
                                        ;     Parent Loop BB2_803 Depth=2
                                        ;       Parent Loop BB2_806 Depth=3
                                        ; =>      This Inner Loop Header: Depth=4
	s_add_co_i32 s75, s75, 1
	s_delay_alu instid0(SALU_CYCLE_1) | instskip(SKIP_1) | instid1(SALU_CYCLE_1)
	s_cmp_lg_u32 s75, 0x2710
	s_cselect_b32 s76, -1, 0
	s_and_b32 vcc_lo, exec_lo, s76
	s_cbranch_vccz .LBB2_863
; %bb.862:                              ;   in Loop: Header=BB2_861 Depth=4
	s_mov_b32 s78, -1
	s_or_b32 s74, s74, exec_lo
	s_and_saveexec_b32 s77, s76
	s_cbranch_execz .LBB2_860
	s_branch .LBB2_864
.LBB2_863:                              ;   in Loop: Header=BB2_861 Depth=4
	s_trap 2
	ds_load_b64 v[10:11], v2
	s_and_not1_b32 s76, s76, exec_lo
	s_mov_b32 s75, 0
	s_wait_loadcnt_dscnt 0x0
	flat_load_b32 v2, v[10:11] scope:SCOPE_SYS
	s_wait_loadcnt_dscnt 0x0
	global_inv scope:SCOPE_SYS
	v_cmp_eq_u32_e32 vcc_lo, 0, v2
	s_and_b32 s77, vcc_lo, exec_lo
	s_delay_alu instid0(SALU_CYCLE_1)
	s_or_b32 s76, s76, s77
	s_mov_b32 s78, -1
	s_or_b32 s74, s74, exec_lo
	s_and_saveexec_b32 s77, s76
	s_cbranch_execz .LBB2_860
.LBB2_864:                              ;   in Loop: Header=BB2_861 Depth=4
	s_sleep 1
	s_trap 2
	ds_load_b64 v[10:11], v2
	s_wait_dscnt 0x0
	s_and_not1_b32 s74, s74, exec_lo
	v_cmp_ge_u64_e32 vcc_lo, v[10:11], v[12:13]
	s_or_not1_b32 s78, vcc_lo, exec_lo
	s_branch .LBB2_860
.LBB2_865:                              ;   in Loop: Header=BB2_806 Depth=3
	s_or_b32 exec_lo, exec_lo, s17
	s_and_saveexec_b32 s17, s47
	s_delay_alu instid0(SALU_CYCLE_1)
	s_xor_b32 s17, exec_lo, s17
	s_cbranch_execz .LBB2_867
; %bb.866:                              ;   in Loop: Header=BB2_806 Depth=3
	ds_store_b32 v2, v75
	s_trap 2
.LBB2_867:                              ;   in Loop: Header=BB2_806 Depth=3
	s_or_b32 exec_lo, exec_lo, s16
	;;#ASMSTART
	s_wakeup
	;;#ASMEND
.LBB2_868:                              ;   in Loop: Header=BB2_806 Depth=3
	s_or_b32 exec_lo, exec_lo, s15
.LBB2_869:                              ;   in Loop: Header=BB2_806 Depth=3
	s_and_not1_saveexec_b32 s14, s14
	s_cbranch_execz .LBB2_871
; %bb.870:                              ;   in Loop: Header=BB2_806 Depth=3
	global_wb scope:SCOPE_DEV
	s_wait_storecnt 0x0
	s_wait_loadcnt_dscnt 0x0
	global_inv scope:SCOPE_DEV
	s_barrier_signal -1
	s_barrier_wait -1
.LBB2_871:                              ;   in Loop: Header=BB2_806 Depth=3
	s_or_b32 exec_lo, exec_lo, s14
.LBB2_872:                              ;   in Loop: Header=BB2_806 Depth=3
	s_delay_alu instid0(SALU_CYCLE_1)
	s_or_b32 exec_lo, exec_lo, s13
	s_trap 2
	ds_load_b64 v[118:119], v2
	s_wait_dscnt 0x0
	v_cmp_eq_u64_e32 vcc_lo, 0, v[118:119]
	s_cbranch_vccnz .LBB2_881
; %bb.873:                              ;   in Loop: Header=BB2_806 Depth=3
	s_trap 2
	ds_load_b64 v[40:41], v2
	s_wait_dscnt 0x0
	v_cmp_eq_u64_e32 vcc_lo, 0, v[40:41]
	s_cbranch_vccnz .LBB2_881
; %bb.874:                              ;   in Loop: Header=BB2_806 Depth=3
	s_trap 2
	ds_load_b64 v[42:43], v8
	v_cmp_eq_u32_e32 vcc_lo, 0, v8
	s_mov_b32 s13, -1
	v_cndmask_b32_e32 v2, 0, v112, vcc_lo
	s_delay_alu instid0(VALU_DEP_1)
	v_lshlrev_b32_e32 v113, 3, v2
	s_wait_dscnt 0x0
	v_cmp_ne_u64_e32 vcc_lo, 0, v[42:43]
	s_cbranch_vccz .LBB2_916
; %bb.875:                              ;   in Loop: Header=BB2_806 Depth=3
	s_and_saveexec_b32 s14, s10
	s_cbranch_execz .LBB2_877
; %bb.876:                              ;   in Loop: Header=BB2_806 Depth=3
	ds_load_b32 v8, v0 offset:720
	s_wait_dscnt 0x0
	v_and_b32_e32 v8, 15, v8
	s_delay_alu instid0(VALU_DEP_1)
	v_cmp_eq_u32_e32 vcc_lo, 0, v8
	s_or_not1_b32 s13, vcc_lo, exec_lo
.LBB2_877:                              ;   in Loop: Header=BB2_806 Depth=3
	s_or_b32 exec_lo, exec_lo, s14
	s_and_saveexec_b32 s14, s11
	s_cbranch_execz .LBB2_879
; %bb.878:                              ;   in Loop: Header=BB2_806 Depth=3
	ds_load_b32 v8, v0 offset:784
	s_wait_dscnt 0x0
	v_and_b32_e32 v8, 15, v8
	s_delay_alu instid0(VALU_DEP_1) | instskip(SKIP_3) | instid1(SALU_CYCLE_1)
	v_cmp_eq_u32_e32 vcc_lo, 0, v8
	s_and_b32 s15, s13, vcc_lo
	s_and_not1_b32 s13, s13, exec_lo
	s_and_b32 s15, s15, exec_lo
	s_or_b32 s13, s13, s15
.LBB2_879:                              ;   in Loop: Header=BB2_806 Depth=3
	s_or_b32 exec_lo, exec_lo, s14
	s_xor_b32 s13, s13, -1
	v_dual_mov_b32 v115, 0 :: v_dual_mov_b32 v56, v113
	v_cndmask_b32_e64 v8, 0, 1, s13
	s_mov_b32 s14, -1
	v_mov_b32_e32 v57, v73
	s_delay_alu instid0(VALU_DEP_2)
	v_cmp_ne_u32_e32 vcc_lo, 0, v8
	v_mov_b32_e32 v8, v0
	s_cbranch_vccz .LBB2_886
; %bb.880:                              ;   in Loop: Header=BB2_806 Depth=3
	s_and_saveexec_b32 s47, s14
	s_cbranch_execnz .LBB2_903
	s_branch .LBB2_915
.LBB2_881:                              ;   in Loop: Header=BB2_806 Depth=3
	s_mov_b32 s13, 0
	s_and_saveexec_b32 s14, s2
	s_cbranch_execnz .LBB2_946
.LBB2_882:                              ;   in Loop: Header=BB2_806 Depth=3
	s_or_b32 exec_lo, exec_lo, s14
                                        ; implicit-def: $vgpr2
	s_and_saveexec_b32 s14, s12
	s_delay_alu instid0(SALU_CYCLE_1)
	s_xor_b32 s14, exec_lo, s14
	s_cbranch_execz .LBB2_964
.LBB2_883:                              ;   in Loop: Header=BB2_806 Depth=3
	v_and_b32_e32 v2, 16, v30
	s_delay_alu instid0(VALU_DEP_1) | instskip(SKIP_2) | instid1(SALU_CYCLE_1)
	v_cmp_ne_u32_e32 vcc_lo, 0, v2
	v_and_b32_e32 v2, 16, v30
	s_and_b32 s15, vcc_lo, s13
	s_and_saveexec_b32 s13, s15
	s_cbranch_execz .LBB2_885
; %bb.884:                              ;   in Loop: Header=BB2_806 Depth=3
	v_mov_b32_e32 v2, 1
	global_wb scope:SCOPE_SYS
	s_wait_storecnt 0x0
	s_wait_loadcnt_dscnt 0x0
	global_inv scope:SCOPE_SYS
.LBB2_885:                              ;   in Loop: Header=BB2_806 Depth=3
	s_or_b32 exec_lo, exec_lo, s13
	s_and_not1_saveexec_b32 s13, s14
	s_cbranch_execz .LBB2_983
	s_branch .LBB2_965
.LBB2_886:                              ;   in Loop: Header=BB2_806 Depth=3
	v_ashrrev_i32_e32 v8, 31, v113
	s_mov_b32 s47, exec_lo
	v_sub_nc_u32_e32 v115, v113, v36
	s_delay_alu instid0(VALU_DEP_2) | instskip(NEXT) | instid1(VALU_DEP_1)
	v_lshrrev_b32_e32 v8, 23, v8
	v_add_nc_u32_e32 v8, v113, v8
	s_delay_alu instid0(VALU_DEP_1) | instskip(NEXT) | instid1(VALU_DEP_1)
	v_and_b32_e32 v59, 0xfffffe00, v8
	v_dual_ashrrev_i32 v8, 9, v8 :: v_dual_sub_nc_u32 v61, v113, v59
	s_delay_alu instid0(VALU_DEP_1) | instskip(NEXT) | instid1(VALU_DEP_2)
	v_sub_nc_u32_e32 v8, v8, v74
	v_cmp_lt_i32_e64 s13, 15, v61
	s_delay_alu instid0(VALU_DEP_1)
	v_add_co_ci_u32_e64 v62, null, 0, v8, s13
	v_cmpx_lt_i32_e32 15, v115
	s_cbranch_execz .LBB2_892
; %bb.887:                              ;   in Loop: Header=BB2_806 Depth=3
	v_add_nc_u64_e32 v[44:45], v[118:119], v[36:37]
	v_add_nc_u64_e32 v[46:47], v[40:41], v[36:37]
	;; [unrolled: 1-line block ×3, first 2 shown]
	s_mov_b32 s74, 0
.LBB2_888:                              ;   Parent Loop BB2_47 Depth=1
                                        ;     Parent Loop BB2_803 Depth=2
                                        ;       Parent Loop BB2_806 Depth=3
                                        ; =>      This Loop Header: Depth=4
                                        ;           Child Loop BB2_889 Depth 5
	global_load_b128 v[8:11], v[44:45], off th:TH_LOAD_NT
	s_mov_b64 s[16:17], 0
	s_mov_b32 s75, -1
.LBB2_889:                              ;   Parent Loop BB2_47 Depth=1
                                        ;     Parent Loop BB2_803 Depth=2
                                        ;       Parent Loop BB2_806 Depth=3
                                        ;         Parent Loop BB2_888 Depth=4
                                        ; =>        This Inner Loop Header: Depth=5
	s_cmp_eq_u32 s16, 1
	s_cselect_b32 vcc_lo, -1, 0
	s_cmp_eq_u32 s16, 0
	s_wait_xcnt 0x0
	v_dual_cndmask_b32 v79, v47, v57 :: v_dual_cndmask_b32 v78, v46, v56
	s_cselect_b32 s14, -1, 0
	s_and_b32 s15, exec_lo, s75
	s_mov_b64 s[16:17], 1
	s_mov_b32 s75, 0
	v_add_nc_u64_e32 v[88:89], 0x200, v[78:79]
	s_wait_loadcnt 0x0
	global_store_b128 v[78:79], v[8:11], off th:TH_STORE_NT
	v_dual_cndmask_b32 v57, v57, v89 :: v_dual_cndmask_b32 v56, v56, v88
	v_dual_cndmask_b32 v47, v47, v89, s14 :: v_dual_cndmask_b32 v46, v46, v88, s14
	s_mov_b32 vcc_lo, s15
	s_cbranch_vccnz .LBB2_889
; %bb.890:                              ;   in Loop: Header=BB2_888 Depth=4
	v_sub_nc_u32_e32 v115, v115, v52
	s_delay_alu instid0(VALU_DEP_2)
	v_add_nc_u64_e32 v[46:47], v[46:47], v[68:69]
	v_add_nc_u64_e32 v[56:57], v[56:57], v[68:69]
	s_wait_xcnt 0x1
	v_add_nc_u64_e32 v[44:45], v[82:83], v[44:45]
	v_sub_nc_u32_e32 v62, v62, v32
	v_cmp_gt_i32_e32 vcc_lo, 16, v115
	s_or_b32 s74, vcc_lo, s74
	s_wait_xcnt 0x0
	s_and_not1_b32 exec_lo, exec_lo, s74
	s_cbranch_execnz .LBB2_888
; %bb.891:                              ;   in Loop: Header=BB2_806 Depth=3
	s_or_b32 exec_lo, exec_lo, s74
.LBB2_892:                              ;   in Loop: Header=BB2_806 Depth=3
	s_delay_alu instid0(SALU_CYCLE_1) | instskip(SKIP_3) | instid1(VALU_DEP_1)
	s_or_b32 exec_lo, exec_lo, s47
	v_dual_mov_b32 v115, 0 :: v_dual_bitop2_b32 v9, 8, v113 bitop3:0x40
	s_mov_b32 s14, 0
	s_mov_b32 s47, exec_lo
                                        ; implicit-def: $vgpr56
                                        ; implicit-def: $vgpr8
                                        ; implicit-def: $vgpr57
	v_cndmask_b32_e64 v60, v61, v9, s13
	s_delay_alu instid0(VALU_DEP_1)
	v_cmpx_ne_u32_e32 0, v60
	s_cbranch_execz .LBB2_902
; %bb.893:                              ;   in Loop: Header=BB2_806 Depth=3
	v_cmp_lt_i32_e32 vcc_lo, 0, v62
	s_mov_b32 s74, exec_lo
	v_dual_ashrrev_i32 v11, 31, v60 :: v_dual_sub_nc_u32 v9, v61, v9
	s_delay_alu instid0(VALU_DEP_1) | instskip(NEXT) | instid1(VALU_DEP_1)
	v_dual_cndmask_b32 v8, 0, v32 :: v_dual_lshrrev_b32 v11, 23, v11
	v_sub_nc_u32_e32 v8, v8, v62
	s_delay_alu instid0(VALU_DEP_1) | instskip(NEXT) | instid1(VALU_DEP_1)
	v_lshl_or_b32 v8, v8, 5, v73
	v_ashrrev_i32_e32 v10, 31, v8
	s_delay_alu instid0(VALU_DEP_1) | instskip(NEXT) | instid1(VALU_DEP_1)
	v_lshrrev_b32_e32 v10, 27, v10
	v_add_nc_u32_e32 v10, v8, v10
	s_delay_alu instid0(VALU_DEP_1) | instskip(NEXT) | instid1(VALU_DEP_1)
	v_and_b32_e32 v115, 0xffffffe0, v10
	v_sub_nc_u32_e32 v63, v8, v115
	v_dual_add_nc_u32 v11, v60, v11 :: v_dual_ashrrev_i32 v10, 5, v10
	s_delay_alu instid0(VALU_DEP_2) | instskip(NEXT) | instid1(VALU_DEP_2)
	v_lshlrev_b32_e32 v8, 4, v63
	v_and_b32_e32 v62, 0xfffffe00, v11
	v_ashrrev_i32_e32 v11, 9, v11
	s_delay_alu instid0(VALU_DEP_3) | instskip(NEXT) | instid1(VALU_DEP_3)
	v_lshl_add_u32 v8, v10, 9, v8
	v_dual_sub_nc_u32 v61, v60, v62 :: v_dual_cndmask_b32 v9, 0, v9, s13
	s_delay_alu instid0(VALU_DEP_2) | instskip(NEXT) | instid1(VALU_DEP_2)
	v_sub_nc_u32_e32 v115, v60, v8
	v_cmp_lt_i32_e64 s13, 15, v61
	s_delay_alu instid0(VALU_DEP_1) | instskip(NEXT) | instid1(VALU_DEP_1)
	v_add_co_ci_u32_e64 v11, null, 0, v11, s13
	v_dual_add_nc_u32 v59, v9, v59 :: v_dual_sub_nc_u32 v78, v11, v10
	s_delay_alu instid0(VALU_DEP_4)
	v_cmpx_lt_i32_e32 15, v115
	s_cbranch_execz .LBB2_899
; %bb.894:                              ;   in Loop: Header=BB2_806 Depth=3
	s_delay_alu instid0(VALU_DEP_2) | instskip(SKIP_1) | instid1(VALU_DEP_1)
	v_add_nc_u32_e32 v8, v8, v59
	s_mov_b32 s75, 0
	v_ashrrev_i32_e32 v9, 31, v8
	s_delay_alu instid0(VALU_DEP_1)
	v_add_nc_u64_e32 v[44:45], v[8:9], v[118:119]
	v_add_nc_u64_e32 v[46:47], v[8:9], v[40:41]
	;; [unrolled: 1-line block ×3, first 2 shown]
.LBB2_895:                              ;   Parent Loop BB2_47 Depth=1
                                        ;     Parent Loop BB2_803 Depth=2
                                        ;       Parent Loop BB2_806 Depth=3
                                        ; =>      This Loop Header: Depth=4
                                        ;           Child Loop BB2_896 Depth 5
	global_load_b128 v[8:11], v[44:45], off th:TH_LOAD_NT
	s_mov_b64 s[16:17], 0
	s_mov_b32 s76, -1
.LBB2_896:                              ;   Parent Loop BB2_47 Depth=1
                                        ;     Parent Loop BB2_803 Depth=2
                                        ;       Parent Loop BB2_806 Depth=3
                                        ;         Parent Loop BB2_895 Depth=4
                                        ; =>        This Inner Loop Header: Depth=5
	s_cmp_eq_u32 s16, 1
	s_cselect_b32 vcc_lo, -1, 0
	s_cmp_eq_u32 s16, 0
	s_wait_xcnt 0x0
	v_dual_cndmask_b32 v89, v47, v57 :: v_dual_cndmask_b32 v88, v46, v56
	s_cselect_b32 s14, -1, 0
	s_and_b32 s15, exec_lo, s76
	s_mov_b64 s[16:17], 1
	s_mov_b32 s76, 0
	v_add_nc_u64_e32 v[90:91], 0x200, v[88:89]
	s_wait_loadcnt 0x0
	global_store_b128 v[88:89], v[8:11], off th:TH_STORE_NT
	v_dual_cndmask_b32 v57, v57, v91 :: v_dual_cndmask_b32 v56, v56, v90
	v_dual_cndmask_b32 v47, v47, v91, s14 :: v_dual_cndmask_b32 v46, v46, v90, s14
	s_mov_b32 vcc_lo, s15
	s_cbranch_vccnz .LBB2_896
; %bb.897:                              ;   in Loop: Header=BB2_895 Depth=4
	v_sub_nc_u32_e32 v115, v115, v52
	s_delay_alu instid0(VALU_DEP_2)
	v_add_nc_u64_e32 v[46:47], v[46:47], v[68:69]
	v_add_nc_u64_e32 v[56:57], v[56:57], v[68:69]
	s_wait_xcnt 0x1
	v_add_nc_u64_e32 v[44:45], v[82:83], v[44:45]
	v_sub_nc_u32_e32 v78, v78, v32
	v_cmp_gt_i32_e32 vcc_lo, 16, v115
	s_or_b32 s75, vcc_lo, s75
	s_wait_xcnt 0x0
	s_and_not1_b32 exec_lo, exec_lo, s75
	s_cbranch_execnz .LBB2_895
; %bb.898:                              ;   in Loop: Header=BB2_806 Depth=3
	s_or_b32 exec_lo, exec_lo, s75
.LBB2_899:                              ;   in Loop: Header=BB2_806 Depth=3
	s_delay_alu instid0(SALU_CYCLE_1) | instskip(SKIP_3) | instid1(VALU_DEP_1)
	s_or_b32 exec_lo, exec_lo, s74
	v_dual_mov_b32 v115, 0 :: v_dual_bitop2_b32 v9, 8, v60 bitop3:0x40
	s_mov_b32 s14, 0
	s_mov_b32 s15, exec_lo
                                        ; implicit-def: $vgpr8
                                        ; implicit-def: $vgpr57
	v_cndmask_b32_e64 v56, v61, v9, s13
	s_delay_alu instid0(VALU_DEP_1)
	v_cmpx_ne_u32_e32 0, v56
	s_cbranch_execz .LBB2_901
; %bb.900:                              ;   in Loop: Header=BB2_806 Depth=3
	v_cmp_lt_i32_e32 vcc_lo, 0, v78
	s_mov_b32 s14, exec_lo
	v_dual_cndmask_b32 v8, 0, v32 :: v_dual_sub_nc_u32 v9, v61, v9
	s_delay_alu instid0(VALU_DEP_1) | instskip(NEXT) | instid1(VALU_DEP_1)
	v_dual_cndmask_b32 v9, 0, v9, s13 :: v_dual_sub_nc_u32 v8, v8, v78
	v_add3_u32 v115, v62, v59, v9
	s_delay_alu instid0(VALU_DEP_2) | instskip(NEXT) | instid1(VALU_DEP_1)
	v_lshl_add_u32 v8, v8, 5, v63
	v_ashrrev_i32_e32 v10, 31, v8
	s_delay_alu instid0(VALU_DEP_1) | instskip(NEXT) | instid1(VALU_DEP_1)
	v_lshrrev_b32_e32 v10, 27, v10
	v_add_nc_u32_e32 v10, v8, v10
	s_delay_alu instid0(VALU_DEP_1) | instskip(NEXT) | instid1(VALU_DEP_1)
	v_and_b32_e32 v10, 0xffffffe0, v10
	v_sub_nc_u32_e32 v57, v8, v10
.LBB2_901:                              ;   in Loop: Header=BB2_806 Depth=3
	s_or_b32 exec_lo, exec_lo, s15
	s_delay_alu instid0(SALU_CYCLE_1)
	s_and_b32 s14, s14, exec_lo
.LBB2_902:                              ;   in Loop: Header=BB2_806 Depth=3
	s_or_b32 exec_lo, exec_lo, s47
	s_and_saveexec_b32 s47, s14
	s_cbranch_execz .LBB2_915
.LBB2_903:                              ;   in Loop: Header=BB2_806 Depth=3
	v_ashrrev_i32_e32 v10, 31, v56
	v_ashrrev_i32_e32 v9, 31, v8
	s_mov_b32 s74, exec_lo
	s_delay_alu instid0(VALU_DEP_1) | instskip(NEXT) | instid1(VALU_DEP_1)
	v_dual_lshrrev_b32 v10, 24, v10 :: v_dual_lshrrev_b32 v9, 27, v9
	v_add_nc_u32_e32 v8, v8, v9
	s_delay_alu instid0(VALU_DEP_2) | instskip(NEXT) | instid1(VALU_DEP_1)
	v_add_nc_u32_e32 v9, v56, v10
	v_and_b32_e32 v59, 0xffffff00, v9
	s_delay_alu instid0(VALU_DEP_3) | instskip(NEXT) | instid1(VALU_DEP_2)
	v_dual_ashrrev_i32 v9, 8, v9 :: v_dual_ashrrev_i32 v10, 5, v8
	v_dual_lshlrev_b32 v8, 3, v57 :: v_dual_sub_nc_u32 v60, v56, v59
	s_delay_alu instid0(VALU_DEP_1) | instskip(NEXT) | instid1(VALU_DEP_3)
	v_lshl_add_u32 v8, v10, 8, v8
	v_sub_nc_u32_e32 v9, v9, v10
	s_delay_alu instid0(VALU_DEP_3) | instskip(NEXT) | instid1(VALU_DEP_3)
	v_cmp_lt_i32_e64 s13, 7, v60
	v_sub_nc_u32_e32 v62, v56, v8
	s_delay_alu instid0(VALU_DEP_2) | instskip(NEXT) | instid1(VALU_DEP_2)
	v_add_co_ci_u32_e64 v61, null, 0, v9, s13
	v_cmpx_lt_i32_e32 7, v62
	s_cbranch_execz .LBB2_909
; %bb.904:                              ;   in Loop: Header=BB2_806 Depth=3
	v_add_nc_u32_e32 v44, v8, v115
	s_mov_b32 s75, 0
	s_delay_alu instid0(VALU_DEP_1) | instskip(NEXT) | instid1(VALU_DEP_1)
	v_ashrrev_i32_e32 v45, 31, v44
	v_add_nc_u64_e32 v[8:9], v[44:45], v[118:119]
	v_add_nc_u64_e32 v[10:11], v[44:45], v[40:41]
	;; [unrolled: 1-line block ×3, first 2 shown]
.LBB2_905:                              ;   Parent Loop BB2_47 Depth=1
                                        ;     Parent Loop BB2_803 Depth=2
                                        ;       Parent Loop BB2_806 Depth=3
                                        ; =>      This Loop Header: Depth=4
                                        ;           Child Loop BB2_906 Depth 5
	flat_load_b64 v[46:47], v[8:9] th:TH_LOAD_NT
	s_mov_b64 s[16:17], 0
	s_mov_b32 s76, -1
.LBB2_906:                              ;   Parent Loop BB2_47 Depth=1
                                        ;     Parent Loop BB2_803 Depth=2
                                        ;       Parent Loop BB2_806 Depth=3
                                        ;         Parent Loop BB2_905 Depth=4
                                        ; =>        This Inner Loop Header: Depth=5
	s_cmp_eq_u32 s16, 1
	s_cselect_b32 vcc_lo, -1, 0
	s_cmp_eq_u32 s16, 0
	s_wait_xcnt 0x0
	v_dual_cndmask_b32 v79, v11, v45 :: v_dual_cndmask_b32 v78, v10, v44
	s_cselect_b32 s14, -1, 0
	s_and_b32 s15, exec_lo, s76
	s_mov_b64 s[16:17], 1
	s_mov_b32 s76, 0
	v_add_nc_u64_e32 v[88:89], 0x100, v[78:79]
	s_wait_loadcnt_dscnt 0x0
	flat_store_b64 v[78:79], v[46:47] th:TH_STORE_NT
	v_dual_cndmask_b32 v45, v45, v89 :: v_dual_cndmask_b32 v44, v44, v88
	v_dual_cndmask_b32 v11, v11, v89, s14 :: v_dual_cndmask_b32 v10, v10, v88, s14
	s_mov_b32 vcc_lo, s15
	s_cbranch_vccnz .LBB2_906
; %bb.907:                              ;   in Loop: Header=BB2_905 Depth=4
	v_dual_sub_nc_u32 v62, v62, v54 :: v_dual_sub_nc_u32 v61, v61, v32
	s_delay_alu instid0(VALU_DEP_2)
	v_add_nc_u64_e32 v[10:11], v[10:11], v[70:71]
	v_add_nc_u64_e32 v[44:45], v[44:45], v[70:71]
	s_wait_xcnt 0x1
	v_add_nc_u64_e32 v[8:9], v[84:85], v[8:9]
	v_cmp_gt_i32_e32 vcc_lo, 8, v62
	s_or_b32 s75, vcc_lo, s75
	s_wait_xcnt 0x0
	s_and_not1_b32 exec_lo, exec_lo, s75
	s_cbranch_execnz .LBB2_905
; %bb.908:                              ;   in Loop: Header=BB2_806 Depth=3
	s_or_b32 exec_lo, exec_lo, s75
.LBB2_909:                              ;   in Loop: Header=BB2_806 Depth=3
	s_delay_alu instid0(SALU_CYCLE_1) | instskip(SKIP_1) | instid1(VALU_DEP_1)
	s_or_b32 exec_lo, exec_lo, s74
	v_and_b32_e32 v8, 7, v56
	v_cndmask_b32_e64 v9, v60, v8, s13
	s_delay_alu instid0(VALU_DEP_1)
	v_cmp_ne_u32_e32 vcc_lo, 0, v9
	s_and_b32 exec_lo, exec_lo, vcc_lo
	s_cbranch_execz .LBB2_915
; %bb.910:                              ;   in Loop: Header=BB2_806 Depth=3
	v_cmp_lt_i32_e32 vcc_lo, 0, v61
	v_cndmask_b32_e32 v10, 0, v32, vcc_lo
	s_delay_alu instid0(VALU_DEP_1) | instskip(NEXT) | instid1(VALU_DEP_1)
	v_sub_nc_u32_e32 v10, v10, v61
	v_lshl_add_u32 v10, v10, 5, v57
	s_delay_alu instid0(VALU_DEP_1) | instskip(NEXT) | instid1(VALU_DEP_1)
	v_ashrrev_i32_e32 v11, 31, v10
	v_lshrrev_b32_e32 v11, 27, v11
	s_delay_alu instid0(VALU_DEP_1) | instskip(NEXT) | instid1(VALU_DEP_1)
	v_add_nc_u32_e32 v11, v10, v11
	v_and_b32_e32 v44, 0x1fffffe0, v11
	s_delay_alu instid0(VALU_DEP_1) | instskip(NEXT) | instid1(VALU_DEP_1)
	v_dual_lshlrev_b32 v11, 3, v11 :: v_dual_sub_nc_u32 v10, v10, v44
	v_and_b32_e32 v11, 0xffffff00, v11
	s_delay_alu instid0(VALU_DEP_1) | instskip(NEXT) | instid1(VALU_DEP_1)
	v_lshl_add_u32 v10, v10, 3, v11
	v_sub_nc_u32_e32 v46, v9, v10
	s_delay_alu instid0(VALU_DEP_1)
	v_cmp_lt_i32_e32 vcc_lo, 7, v46
	s_and_b32 exec_lo, exec_lo, vcc_lo
	s_cbranch_execz .LBB2_915
; %bb.911:                              ;   in Loop: Header=BB2_806 Depth=3
	v_dual_sub_nc_u32 v8, v60, v8 :: v_dual_add_nc_u32 v9, v59, v115
	s_mov_b32 s15, 0
	s_delay_alu instid0(VALU_DEP_1) | instskip(NEXT) | instid1(VALU_DEP_1)
	v_cndmask_b32_e64 v8, 0, v8, s13
	v_add3_u32 v44, v9, v8, v10
	s_delay_alu instid0(VALU_DEP_1) | instskip(NEXT) | instid1(VALU_DEP_1)
	v_ashrrev_i32_e32 v45, 31, v44
	v_add_nc_u64_e32 v[8:9], v[44:45], v[118:119]
	v_add_nc_u64_e32 v[10:11], v[44:45], v[40:41]
	;; [unrolled: 1-line block ×3, first 2 shown]
.LBB2_912:                              ;   Parent Loop BB2_47 Depth=1
                                        ;     Parent Loop BB2_803 Depth=2
                                        ;       Parent Loop BB2_806 Depth=3
                                        ; =>      This Loop Header: Depth=4
                                        ;           Child Loop BB2_913 Depth 5
	flat_load_b64 v[44:45], v[8:9] th:TH_LOAD_NT
	s_mov_b64 s[16:17], 0
	s_mov_b32 s74, -1
.LBB2_913:                              ;   Parent Loop BB2_47 Depth=1
                                        ;     Parent Loop BB2_803 Depth=2
                                        ;       Parent Loop BB2_806 Depth=3
                                        ;         Parent Loop BB2_912 Depth=4
                                        ; =>        This Inner Loop Header: Depth=5
	s_cmp_eq_u32 s16, 1
	s_cselect_b32 vcc_lo, -1, 0
	s_cmp_eq_u32 s16, 0
	s_wait_xcnt 0x0
	v_dual_cndmask_b32 v57, v11, v43 :: v_dual_cndmask_b32 v56, v10, v42
	s_cselect_b32 s13, -1, 0
	s_and_b32 s14, exec_lo, s74
	s_mov_b64 s[16:17], 1
	s_mov_b32 s74, 0
	v_add_nc_u64_e32 v[60:61], 0x100, v[56:57]
	s_wait_loadcnt_dscnt 0x0
	flat_store_b64 v[56:57], v[44:45] th:TH_STORE_NT
	v_dual_cndmask_b32 v43, v43, v61 :: v_dual_cndmask_b32 v42, v42, v60
	v_dual_cndmask_b32 v11, v11, v61, s13 :: v_dual_cndmask_b32 v10, v10, v60, s13
	s_mov_b32 vcc_lo, s14
	s_cbranch_vccnz .LBB2_913
; %bb.914:                              ;   in Loop: Header=BB2_912 Depth=4
	v_sub_nc_u32_e32 v46, v46, v64
	s_delay_alu instid0(VALU_DEP_2)
	v_add_nc_u64_e32 v[10:11], v[10:11], v[80:81]
	v_add_nc_u64_e32 v[42:43], v[42:43], v[80:81]
	s_wait_xcnt 0x1
	v_add_nc_u64_e32 v[8:9], v[86:87], v[8:9]
	v_cmp_gt_i32_e32 vcc_lo, 8, v46
	s_or_b32 s15, vcc_lo, s15
	s_wait_xcnt 0x0
	s_and_not1_b32 exec_lo, exec_lo, s15
	s_cbranch_execnz .LBB2_912
.LBB2_915:                              ;   in Loop: Header=BB2_806 Depth=3
	s_or_b32 exec_lo, exec_lo, s47
	s_mov_b32 s13, 0
.LBB2_916:                              ;   in Loop: Header=BB2_806 Depth=3
	s_delay_alu instid0(SALU_CYCLE_1)
	s_and_b32 vcc_lo, exec_lo, s13
	s_cbranch_vccz .LBB2_945
; %bb.917:                              ;   in Loop: Header=BB2_806 Depth=3
	s_mov_b32 s13, -1
	s_and_saveexec_b32 s14, s10
	s_cbranch_execz .LBB2_919
; %bb.918:                              ;   in Loop: Header=BB2_806 Depth=3
	ds_load_b32 v8, v0 offset:720
	s_wait_dscnt 0x0
	v_and_b32_e32 v8, 15, v8
	s_delay_alu instid0(VALU_DEP_1)
	v_cmp_eq_u32_e32 vcc_lo, 0, v8
	s_or_not1_b32 s13, vcc_lo, exec_lo
.LBB2_919:                              ;   in Loop: Header=BB2_806 Depth=3
	s_or_b32 exec_lo, exec_lo, s14
	s_and_saveexec_b32 s14, s7
	s_cbranch_execz .LBB2_921
; %bb.920:                              ;   in Loop: Header=BB2_806 Depth=3
	ds_load_b32 v8, v0 offset:784
	s_wait_dscnt 0x0
	v_and_b32_e32 v8, 15, v8
	s_delay_alu instid0(VALU_DEP_1) | instskip(SKIP_3) | instid1(SALU_CYCLE_1)
	v_cmp_eq_u32_e32 vcc_lo, 0, v8
	s_and_b32 s15, s13, vcc_lo
	s_and_not1_b32 s13, s13, exec_lo
	s_and_b32 s15, s15, exec_lo
	s_or_b32 s13, s13, s15
.LBB2_921:                              ;   in Loop: Header=BB2_806 Depth=3
	s_or_b32 exec_lo, exec_lo, s14
	s_xor_b32 s13, s13, -1
	v_mov_b32_e32 v10, 0
	v_cndmask_b32_e64 v8, 0, 1, s13
	s_mov_b32 s13, -1
	s_delay_alu instid0(VALU_DEP_1)
	v_cmp_ne_u32_e32 vcc_lo, 0, v8
	s_cbranch_vccz .LBB2_923
; %bb.922:                              ;   in Loop: Header=BB2_806 Depth=3
	v_dual_mov_b32 v8, v0 :: v_dual_mov_b32 v11, v73
	s_and_saveexec_b32 s14, s13
	s_cbranch_execnz .LBB2_936
	s_branch .LBB2_944
.LBB2_923:                              ;   in Loop: Header=BB2_806 Depth=3
	v_ashrrev_i32_e32 v8, 31, v113
	s_mov_b32 s13, exec_lo
	s_delay_alu instid0(VALU_DEP_1) | instskip(NEXT) | instid1(VALU_DEP_1)
	v_lshrrev_b32_e32 v8, 22, v8
	v_add_nc_u32_e32 v8, v113, v8
	s_delay_alu instid0(VALU_DEP_1) | instskip(NEXT) | instid1(VALU_DEP_1)
	v_ashrrev_i32_e32 v10, 10, v8
	v_sub_nc_u32_e32 v42, v10, v74
	s_delay_alu instid0(VALU_DEP_1)
	v_cmpx_lt_i32_e32 0, v42
	s_cbranch_execz .LBB2_927
; %bb.924:                              ;   in Loop: Header=BB2_806 Depth=3
	v_mov_b64_e32 v[8:9], v[66:67]
	s_mov_b32 s14, 0
.LBB2_925:                              ;   Parent Loop BB2_47 Depth=1
                                        ;     Parent Loop BB2_803 Depth=2
                                        ;       Parent Loop BB2_806 Depth=3
                                        ; =>      This Inner Loop Header: Depth=4
	s_delay_alu instid0(VALU_DEP_1)
	v_add_nc_u64_e32 v[56:57], v[118:119], v[8:9]
	v_sub_nc_u32_e32 v42, v42, v32
	s_clause 0x1
	global_load_b128 v[44:47], v[56:57], off th:TH_LOAD_NT
	global_load_b128 v[60:63], v[56:57], off offset:512 th:TH_LOAD_NT
	s_wait_xcnt 0x0
	v_add_nc_u64_e32 v[56:57], v[40:41], v[8:9]
	v_cmp_gt_i32_e32 vcc_lo, 1, v42
	v_add_nc_u64_e32 v[8:9], v[8:9], v[50:51]
	s_wait_loadcnt 0x1
	global_store_b128 v[56:57], v[44:47], off th:TH_STORE_NT
	s_wait_loadcnt 0x0
	global_store_b128 v[56:57], v[60:63], off offset:512 th:TH_STORE_NT
	s_or_b32 s14, vcc_lo, s14
	s_wait_xcnt 0x0
	s_and_not1_b32 exec_lo, exec_lo, s14
	s_cbranch_execnz .LBB2_925
; %bb.926:                              ;   in Loop: Header=BB2_806 Depth=3
	s_or_b32 exec_lo, exec_lo, s14
.LBB2_927:                              ;   in Loop: Header=BB2_806 Depth=3
	s_delay_alu instid0(SALU_CYCLE_1) | instskip(SKIP_3) | instid1(VALU_DEP_1)
	s_or_b32 exec_lo, exec_lo, s13
	v_dual_mov_b32 v10, 0 :: v_dual_lshlrev_b32 v115, 10, v10
	s_mov_b32 s13, 0
	s_mov_b32 s14, exec_lo
                                        ; implicit-def: $vgpr8
                                        ; implicit-def: $vgpr11
	v_cmpx_ne_u32_e64 v113, v115
	s_cbranch_execz .LBB2_935
; %bb.928:                              ;   in Loop: Header=BB2_806 Depth=3
	v_dual_lshlrev_b32 v8, 5, v42 :: v_dual_sub_nc_u32 v10, v113, v115
	s_mov_b32 s15, exec_lo
	s_delay_alu instid0(VALU_DEP_1) | instskip(NEXT) | instid1(VALU_DEP_1)
	v_dual_sub_nc_u32 v8, v73, v8 :: v_dual_ashrrev_i32 v11, 31, v10
	v_dual_ashrrev_i32 v9, 31, v8 :: v_dual_lshrrev_b32 v11, 23, v11
	s_delay_alu instid0(VALU_DEP_1) | instskip(NEXT) | instid1(VALU_DEP_1)
	v_lshrrev_b32_e32 v9, 27, v9
	v_add_nc_u32_e32 v9, v8, v9
	s_delay_alu instid0(VALU_DEP_1) | instskip(NEXT) | instid1(VALU_DEP_1)
	v_and_b32_e32 v42, 0xffffffe0, v9
	v_dual_add_nc_u32 v11, v10, v11 :: v_dual_sub_nc_u32 v43, v8, v42
	s_delay_alu instid0(VALU_DEP_1) | instskip(SKIP_1) | instid1(VALU_DEP_2)
	v_and_b32_e32 v42, 0xfffffe00, v11
	v_dual_ashrrev_i32 v9, 5, v9 :: v_dual_ashrrev_i32 v11, 9, v11
	v_dual_lshlrev_b32 v8, 4, v43 :: v_dual_sub_nc_u32 v44, v10, v42
	s_delay_alu instid0(VALU_DEP_1) | instskip(NEXT) | instid1(VALU_DEP_2)
	v_lshl_add_u32 v8, v9, 9, v8
	v_cmp_lt_i32_e32 vcc_lo, 15, v44
	s_delay_alu instid0(VALU_DEP_4) | instskip(NEXT) | instid1(VALU_DEP_1)
	v_add_co_ci_u32_e64 v11, null, 0, v11, vcc_lo
	v_dual_sub_nc_u32 v10, v10, v8 :: v_dual_sub_nc_u32 v45, v11, v9
	s_delay_alu instid0(VALU_DEP_1)
	v_cmpx_lt_i32_e32 15, v10
	s_cbranch_execz .LBB2_932
; %bb.929:                              ;   in Loop: Header=BB2_806 Depth=3
	v_add_nc_u32_e32 v8, v8, v115
	s_mov_b32 s16, 0
	s_delay_alu instid0(VALU_DEP_1)
	v_ashrrev_i32_e32 v9, 31, v8
.LBB2_930:                              ;   Parent Loop BB2_47 Depth=1
                                        ;     Parent Loop BB2_803 Depth=2
                                        ;       Parent Loop BB2_806 Depth=3
                                        ; =>      This Inner Loop Header: Depth=4
	s_delay_alu instid0(VALU_DEP_1) | instskip(SKIP_2) | instid1(VALU_DEP_2)
	v_add_nc_u64_e32 v[46:47], v[118:119], v[8:9]
	v_sub_nc_u32_e32 v10, v10, v52
	v_sub_nc_u32_e32 v45, v45, v32
	v_cmp_gt_i32_e64 s13, 16, v10
	global_load_b128 v[60:63], v[46:47], off th:TH_LOAD_NT
	s_wait_xcnt 0x0
	v_add_nc_u64_e32 v[46:47], v[40:41], v[8:9]
	v_add_nc_u64_e32 v[8:9], v[8:9], v[52:53]
	s_or_b32 s16, s13, s16
	s_wait_loadcnt 0x0
	global_store_b128 v[46:47], v[60:63], off th:TH_STORE_NT
	s_wait_xcnt 0x0
	s_and_not1_b32 exec_lo, exec_lo, s16
	s_cbranch_execnz .LBB2_930
; %bb.931:                              ;   in Loop: Header=BB2_806 Depth=3
	s_or_b32 exec_lo, exec_lo, s16
.LBB2_932:                              ;   in Loop: Header=BB2_806 Depth=3
	s_delay_alu instid0(SALU_CYCLE_1) | instskip(SKIP_3) | instid1(VALU_DEP_1)
	s_or_b32 exec_lo, exec_lo, s15
	v_dual_mov_b32 v10, 0 :: v_dual_bitop2_b32 v9, 8, v113 bitop3:0x40
	s_mov_b32 s15, 0
	s_mov_b32 s16, exec_lo
                                        ; implicit-def: $vgpr8
                                        ; implicit-def: $vgpr11
	v_cndmask_b32_e32 v113, v44, v9, vcc_lo
	s_delay_alu instid0(VALU_DEP_1)
	v_cmpx_ne_u32_e32 0, v113
	s_cbranch_execz .LBB2_934
; %bb.933:                              ;   in Loop: Header=BB2_806 Depth=3
	v_cmp_lt_i32_e64 s13, 0, v45
	s_mov_b32 s15, exec_lo
	v_dual_sub_nc_u32 v9, v44, v9 :: v_dual_cndmask_b32 v8, 0, v32, s13
	s_delay_alu instid0(VALU_DEP_1) | instskip(NEXT) | instid1(VALU_DEP_2)
	v_cndmask_b32_e32 v9, 0, v9, vcc_lo
	v_sub_nc_u32_e32 v8, v8, v45
	s_delay_alu instid0(VALU_DEP_1) | instskip(NEXT) | instid1(VALU_DEP_1)
	v_lshl_add_u32 v8, v8, 5, v43
	v_ashrrev_i32_e32 v10, 31, v8
	s_delay_alu instid0(VALU_DEP_1) | instskip(NEXT) | instid1(VALU_DEP_1)
	v_lshrrev_b32_e32 v10, 27, v10
	v_add_nc_u32_e32 v10, v8, v10
	s_delay_alu instid0(VALU_DEP_1) | instskip(SKIP_1) | instid1(VALU_DEP_2)
	v_and_b32_e32 v11, 0xffffffe0, v10
	v_add3_u32 v10, v42, v115, v9
	v_sub_nc_u32_e32 v11, v8, v11
.LBB2_934:                              ;   in Loop: Header=BB2_806 Depth=3
	s_or_b32 exec_lo, exec_lo, s16
	s_delay_alu instid0(SALU_CYCLE_1)
	s_and_b32 s13, s15, exec_lo
.LBB2_935:                              ;   in Loop: Header=BB2_806 Depth=3
	s_or_b32 exec_lo, exec_lo, s14
	s_and_saveexec_b32 s14, s13
	s_cbranch_execz .LBB2_944
.LBB2_936:                              ;   in Loop: Header=BB2_806 Depth=3
	s_delay_alu instid0(VALU_DEP_1) | instskip(SKIP_1) | instid1(VALU_DEP_1)
	v_dual_ashrrev_i32 v9, 31, v8 :: v_dual_ashrrev_i32 v115, 31, v113
	s_mov_b32 s15, exec_lo
	v_dual_lshrrev_b32 v9, 27, v9 :: v_dual_lshrrev_b32 v115, 24, v115
	s_delay_alu instid0(VALU_DEP_1) | instskip(NEXT) | instid1(VALU_DEP_1)
	v_dual_add_nc_u32 v8, v8, v9 :: v_dual_add_nc_u32 v9, v113, v115
	v_dual_ashrrev_i32 v43, 5, v8 :: v_dual_lshlrev_b32 v8, 3, v11
	s_delay_alu instid0(VALU_DEP_2) | instskip(SKIP_1) | instid1(VALU_DEP_3)
	v_and_b32_e32 v115, 0xffffff00, v9
	v_ashrrev_i32_e32 v9, 8, v9
	v_lshl_add_u32 v8, v43, 8, v8
	s_delay_alu instid0(VALU_DEP_3) | instskip(NEXT) | instid1(VALU_DEP_3)
	v_sub_nc_u32_e32 v42, v113, v115
	v_sub_nc_u32_e32 v9, v9, v43
	s_delay_alu instid0(VALU_DEP_3) | instskip(NEXT) | instid1(VALU_DEP_3)
	v_sub_nc_u32_e32 v44, v113, v8
	v_cmp_lt_i32_e32 vcc_lo, 7, v42
	s_delay_alu instid0(VALU_DEP_3) | instskip(NEXT) | instid1(VALU_DEP_3)
	v_add_co_ci_u32_e64 v43, null, 0, v9, vcc_lo
	v_cmpx_lt_i32_e32 7, v44
	s_cbranch_execz .LBB2_940
; %bb.937:                              ;   in Loop: Header=BB2_806 Depth=3
	v_add_nc_u32_e32 v8, v8, v10
	s_mov_b32 s16, 0
	s_delay_alu instid0(VALU_DEP_1)
	v_ashrrev_i32_e32 v9, 31, v8
.LBB2_938:                              ;   Parent Loop BB2_47 Depth=1
                                        ;     Parent Loop BB2_803 Depth=2
                                        ;       Parent Loop BB2_806 Depth=3
                                        ; =>      This Inner Loop Header: Depth=4
	s_delay_alu instid0(VALU_DEP_1) | instskip(SKIP_3) | instid1(VALU_DEP_3)
	v_add_nc_u64_e32 v[46:47], v[118:119], v[8:9]
	v_dual_sub_nc_u32 v44, v44, v54 :: v_dual_sub_nc_u32 v43, v43, v32
	v_add_nc_u64_e32 v[56:57], v[40:41], v[8:9]
	v_add_nc_u64_e32 v[8:9], v[8:9], v[54:55]
	v_cmp_gt_i32_e64 s13, 8, v44
	flat_load_b64 v[46:47], v[46:47] th:TH_LOAD_NT
	s_or_b32 s16, s13, s16
	s_wait_loadcnt_dscnt 0x0
	flat_store_b64 v[56:57], v[46:47] th:TH_STORE_NT
	s_wait_xcnt 0x0
	s_and_not1_b32 exec_lo, exec_lo, s16
	s_cbranch_execnz .LBB2_938
; %bb.939:                              ;   in Loop: Header=BB2_806 Depth=3
	s_or_b32 exec_lo, exec_lo, s16
.LBB2_940:                              ;   in Loop: Header=BB2_806 Depth=3
	s_delay_alu instid0(SALU_CYCLE_1) | instskip(SKIP_1) | instid1(VALU_DEP_1)
	s_or_b32 exec_lo, exec_lo, s15
	v_and_b32_e32 v8, 7, v113
	v_cndmask_b32_e32 v9, v42, v8, vcc_lo
	s_delay_alu instid0(VALU_DEP_1)
	v_cmp_ne_u32_e64 s13, 0, v9
	s_and_b32 exec_lo, exec_lo, s13
	s_cbranch_execz .LBB2_944
; %bb.941:                              ;   in Loop: Header=BB2_806 Depth=3
	v_cmp_lt_i32_e64 s13, 0, v43
	s_delay_alu instid0(VALU_DEP_1) | instskip(NEXT) | instid1(VALU_DEP_1)
	v_cndmask_b32_e64 v113, 0, v32, s13
	v_sub_nc_u32_e32 v113, v113, v43
	s_delay_alu instid0(VALU_DEP_1) | instskip(NEXT) | instid1(VALU_DEP_1)
	v_lshl_add_u32 v11, v113, 5, v11
	v_ashrrev_i32_e32 v113, 31, v11
	s_delay_alu instid0(VALU_DEP_1) | instskip(NEXT) | instid1(VALU_DEP_1)
	v_lshrrev_b32_e32 v113, 27, v113
	v_add_nc_u32_e32 v113, v11, v113
	s_delay_alu instid0(VALU_DEP_1) | instskip(NEXT) | instid1(VALU_DEP_1)
	v_and_b32_e32 v43, 0x1fffffe0, v113
	v_dual_lshlrev_b32 v113, 3, v113 :: v_dual_sub_nc_u32 v11, v11, v43
	s_delay_alu instid0(VALU_DEP_1) | instskip(NEXT) | instid1(VALU_DEP_1)
	v_and_b32_e32 v113, 0xffffff00, v113
	v_lshl_add_u32 v113, v11, 3, v113
	s_delay_alu instid0(VALU_DEP_1) | instskip(NEXT) | instid1(VALU_DEP_1)
	v_sub_nc_u32_e32 v11, v9, v113
	v_cmp_lt_i32_e64 s13, 7, v11
	s_and_b32 exec_lo, exec_lo, s13
	s_cbranch_execz .LBB2_944
; %bb.942:                              ;   in Loop: Header=BB2_806 Depth=3
	v_dual_sub_nc_u32 v8, v42, v8 :: v_dual_add_nc_u32 v9, v115, v10
	s_mov_b32 s13, 0
	s_delay_alu instid0(VALU_DEP_1) | instskip(NEXT) | instid1(VALU_DEP_1)
	v_cndmask_b32_e32 v8, 0, v8, vcc_lo
	v_add3_u32 v8, v9, v8, v113
	s_delay_alu instid0(VALU_DEP_1)
	v_ashrrev_i32_e32 v9, 31, v8
.LBB2_943:                              ;   Parent Loop BB2_47 Depth=1
                                        ;     Parent Loop BB2_803 Depth=2
                                        ;       Parent Loop BB2_806 Depth=3
                                        ; =>      This Inner Loop Header: Depth=4
	s_delay_alu instid0(VALU_DEP_1) | instskip(SKIP_3) | instid1(VALU_DEP_3)
	v_add_nc_u64_e32 v[42:43], v[118:119], v[8:9]
	v_sub_nc_u32_e32 v11, v11, v64
	v_add_nc_u64_e32 v[44:45], v[40:41], v[8:9]
	v_add_nc_u64_e32 v[8:9], v[8:9], v[54:55]
	v_cmp_gt_i32_e32 vcc_lo, 8, v11
	flat_load_b64 v[42:43], v[42:43] th:TH_LOAD_NT
	s_or_b32 s13, vcc_lo, s13
	s_wait_loadcnt_dscnt 0x0
	flat_store_b64 v[44:45], v[42:43] th:TH_STORE_NT
	s_wait_xcnt 0x0
	s_and_not1_b32 exec_lo, exec_lo, s13
	s_cbranch_execnz .LBB2_943
.LBB2_944:                              ;   in Loop: Header=BB2_806 Depth=3
	s_or_b32 exec_lo, exec_lo, s14
.LBB2_945:                              ;   in Loop: Header=BB2_806 Depth=3
	v_cmp_lt_i32_e64 s13, 0, v2
	s_and_saveexec_b32 s14, s2
	s_cbranch_execz .LBB2_882
.LBB2_946:                              ;   in Loop: Header=BB2_806 Depth=3
	s_and_saveexec_b32 s15, s3
	s_delay_alu instid0(SALU_CYCLE_1)
	s_xor_b32 s15, exec_lo, s15
	s_cbranch_execz .LBB2_961
; %bb.947:                              ;   in Loop: Header=BB2_806 Depth=3
	s_and_saveexec_b32 s16, s6
	s_cbranch_execz .LBB2_960
; %bb.948:                              ;   in Loop: Header=BB2_806 Depth=3
	s_mov_b32 s47, exec_lo
	s_mov_b32 s17, exec_lo
	v_mbcnt_lo_u32_b32 v2, s47, 0
	global_wb scope:SCOPE_DEV
	s_wait_storecnt 0x0
	s_wait_loadcnt_dscnt 0x0
	global_inv scope:SCOPE_DEV
	v_cmpx_eq_u32_e32 0, v2
	s_cbranch_execz .LBB2_950
; %bb.949:                              ;   in Loop: Header=BB2_806 Depth=3
	s_bcnt1_i32_b32 s47, s47
	s_delay_alu instid0(SALU_CYCLE_1)
	v_mov_b32_e32 v2, s47
	s_wait_loadcnt 0x0
	ds_add_u64 v2, v[2:3]
	s_trap 2
.LBB2_950:                              ;   in Loop: Header=BB2_806 Depth=3
	s_or_b32 exec_lo, exec_lo, s17
	s_trap 2
	ds_load_b64 v[8:9], v2
	s_wait_dscnt 0x0
	v_add_nc_u64_e32 v[12:13], v[12:13], v[32:33]
	s_mov_b32 s17, exec_lo
	s_delay_alu instid0(VALU_DEP_1)
	v_cmpx_lt_u64_e64 v[8:9], v[12:13]
	s_cbranch_execz .LBB2_959
; %bb.951:                              ;   in Loop: Header=BB2_806 Depth=3
	s_mov_b32 s47, 0
	s_mov_b32 s76, 0
                                        ; implicit-def: $sgpr74
                                        ; implicit-def: $sgpr75
	s_branch .LBB2_953
.LBB2_952:                              ;   in Loop: Header=BB2_953 Depth=4
	s_or_b32 exec_lo, exec_lo, s78
	s_delay_alu instid0(SALU_CYCLE_1) | instskip(NEXT) | instid1(SALU_CYCLE_1)
	s_and_b32 s77, exec_lo, s79
	s_or_b32 s47, s77, s47
	s_and_not1_b32 s74, s74, exec_lo
	s_and_b32 s77, s75, exec_lo
	s_delay_alu instid0(SALU_CYCLE_1)
	s_or_b32 s74, s74, s77
	s_and_not1_b32 exec_lo, exec_lo, s47
	s_cbranch_execz .LBB2_957
.LBB2_953:                              ;   Parent Loop BB2_47 Depth=1
                                        ;     Parent Loop BB2_803 Depth=2
                                        ;       Parent Loop BB2_806 Depth=3
                                        ; =>      This Inner Loop Header: Depth=4
	s_add_co_i32 s76, s76, 1
	s_delay_alu instid0(SALU_CYCLE_1) | instskip(SKIP_1) | instid1(SALU_CYCLE_1)
	s_cmp_lg_u32 s76, 0x2710
	s_cselect_b32 s77, -1, 0
	s_and_b32 vcc_lo, exec_lo, s77
	s_cbranch_vccz .LBB2_955
; %bb.954:                              ;   in Loop: Header=BB2_953 Depth=4
	s_mov_b32 s79, -1
	s_or_b32 s75, s75, exec_lo
	s_and_saveexec_b32 s78, s77
	s_cbranch_execz .LBB2_952
	s_branch .LBB2_956
.LBB2_955:                              ;   in Loop: Header=BB2_953 Depth=4
	s_trap 2
	ds_load_b64 v[8:9], v2
	s_and_not1_b32 s77, s77, exec_lo
	s_mov_b32 s76, 0
	s_wait_loadcnt_dscnt 0x0
	flat_load_b32 v2, v[8:9] scope:SCOPE_SYS
	s_wait_loadcnt_dscnt 0x0
	global_inv scope:SCOPE_SYS
	v_cmp_eq_u32_e32 vcc_lo, 0, v2
	s_and_b32 s78, vcc_lo, exec_lo
	s_delay_alu instid0(SALU_CYCLE_1)
	s_or_b32 s77, s77, s78
	s_mov_b32 s79, -1
	s_or_b32 s75, s75, exec_lo
	s_and_saveexec_b32 s78, s77
	s_cbranch_execz .LBB2_952
.LBB2_956:                              ;   in Loop: Header=BB2_953 Depth=4
	s_sleep 1
	s_trap 2
	ds_load_b64 v[8:9], v2
	s_wait_dscnt 0x0
	s_and_not1_b32 s75, s75, exec_lo
	v_cmp_ge_u64_e32 vcc_lo, v[8:9], v[12:13]
	s_or_not1_b32 s79, vcc_lo, exec_lo
	s_branch .LBB2_952
.LBB2_957:                              ;   in Loop: Header=BB2_806 Depth=3
	s_or_b32 exec_lo, exec_lo, s47
	s_and_saveexec_b32 s47, s74
	s_delay_alu instid0(SALU_CYCLE_1)
	s_xor_b32 s47, exec_lo, s47
	s_cbranch_execz .LBB2_959
; %bb.958:                              ;   in Loop: Header=BB2_806 Depth=3
	ds_store_b32 v2, v75
	s_trap 2
.LBB2_959:                              ;   in Loop: Header=BB2_806 Depth=3
	s_or_b32 exec_lo, exec_lo, s17
	;;#ASMSTART
	s_wakeup
	;;#ASMEND
.LBB2_960:                              ;   in Loop: Header=BB2_806 Depth=3
	s_or_b32 exec_lo, exec_lo, s16
.LBB2_961:                              ;   in Loop: Header=BB2_806 Depth=3
	s_and_not1_saveexec_b32 s15, s15
	s_cbranch_execz .LBB2_963
; %bb.962:                              ;   in Loop: Header=BB2_806 Depth=3
	global_wb scope:SCOPE_DEV
	s_wait_storecnt 0x0
	s_wait_loadcnt_dscnt 0x0
	global_inv scope:SCOPE_DEV
	s_barrier_signal -1
	s_barrier_wait -1
.LBB2_963:                              ;   in Loop: Header=BB2_806 Depth=3
	s_or_b32 exec_lo, exec_lo, s15
	s_delay_alu instid0(SALU_CYCLE_1) | instskip(SKIP_1) | instid1(SALU_CYCLE_1)
	s_or_b32 exec_lo, exec_lo, s14
                                        ; implicit-def: $vgpr2
	s_and_saveexec_b32 s14, s12
	s_xor_b32 s14, exec_lo, s14
	s_cbranch_execnz .LBB2_883
.LBB2_964:                              ;   in Loop: Header=BB2_806 Depth=3
	s_and_not1_saveexec_b32 s13, s14
	s_cbranch_execz .LBB2_983
.LBB2_965:                              ;   in Loop: Header=BB2_806 Depth=3
	s_and_saveexec_b32 s14, s3
	s_delay_alu instid0(SALU_CYCLE_1)
	s_xor_b32 s14, exec_lo, s14
	s_cbranch_execz .LBB2_980
; %bb.966:                              ;   in Loop: Header=BB2_806 Depth=3
	s_and_saveexec_b32 s15, s6
	s_cbranch_execz .LBB2_979
; %bb.967:                              ;   in Loop: Header=BB2_806 Depth=3
	s_mov_b32 s17, exec_lo
	s_mov_b32 s16, exec_lo
	v_mbcnt_lo_u32_b32 v2, s17, 0
	;;#ASMSTART
	s_waitcnt lgkmcnt(0) vmcnt(0)
	;;#ASMEND
	s_delay_alu instid0(VALU_DEP_1)
	v_cmpx_eq_u32_e32 0, v2
	s_cbranch_execz .LBB2_969
; %bb.968:                              ;   in Loop: Header=BB2_806 Depth=3
	s_bcnt1_i32_b32 s17, s17
	s_delay_alu instid0(SALU_CYCLE_1)
	v_mov_b32_e32 v2, s17
	s_wait_storecnt 0x0
	s_wait_loadcnt_dscnt 0x0
	ds_add_u64 v2, v[2:3]
	s_trap 2
.LBB2_969:                              ;   in Loop: Header=BB2_806 Depth=3
	s_or_b32 exec_lo, exec_lo, s16
	s_trap 2
	ds_load_b64 v[8:9], v2
	s_wait_dscnt 0x0
	v_add_nc_u64_e32 v[12:13], v[12:13], v[32:33]
	s_mov_b32 s16, exec_lo
	s_delay_alu instid0(VALU_DEP_1)
	v_cmpx_lt_u64_e64 v[8:9], v[12:13]
	s_cbranch_execz .LBB2_978
; %bb.970:                              ;   in Loop: Header=BB2_806 Depth=3
	s_mov_b32 s17, 0
	s_mov_b32 s75, 0
                                        ; implicit-def: $sgpr47
                                        ; implicit-def: $sgpr74
	s_branch .LBB2_972
.LBB2_971:                              ;   in Loop: Header=BB2_972 Depth=4
	s_or_b32 exec_lo, exec_lo, s77
	s_delay_alu instid0(SALU_CYCLE_1) | instskip(NEXT) | instid1(SALU_CYCLE_1)
	s_and_b32 s76, exec_lo, s78
	s_or_b32 s17, s76, s17
	s_and_not1_b32 s47, s47, exec_lo
	s_and_b32 s76, s74, exec_lo
	s_delay_alu instid0(SALU_CYCLE_1)
	s_or_b32 s47, s47, s76
	s_and_not1_b32 exec_lo, exec_lo, s17
	s_cbranch_execz .LBB2_976
.LBB2_972:                              ;   Parent Loop BB2_47 Depth=1
                                        ;     Parent Loop BB2_803 Depth=2
                                        ;       Parent Loop BB2_806 Depth=3
                                        ; =>      This Inner Loop Header: Depth=4
	s_add_co_i32 s75, s75, 1
	s_delay_alu instid0(SALU_CYCLE_1) | instskip(SKIP_1) | instid1(SALU_CYCLE_1)
	s_cmp_lg_u32 s75, 0x2710
	s_cselect_b32 s76, -1, 0
	s_and_b32 vcc_lo, exec_lo, s76
	s_cbranch_vccz .LBB2_974
; %bb.973:                              ;   in Loop: Header=BB2_972 Depth=4
	s_mov_b32 s78, -1
	s_or_b32 s74, s74, exec_lo
	s_and_saveexec_b32 s77, s76
	s_cbranch_execz .LBB2_971
	s_branch .LBB2_975
.LBB2_974:                              ;   in Loop: Header=BB2_972 Depth=4
	s_trap 2
	ds_load_b64 v[8:9], v2
	s_and_not1_b32 s76, s76, exec_lo
	s_mov_b32 s75, 0
	s_wait_storecnt 0x0
	s_wait_loadcnt_dscnt 0x0
	flat_load_b32 v2, v[8:9] scope:SCOPE_SYS
	s_wait_loadcnt_dscnt 0x0
	global_inv scope:SCOPE_SYS
	v_cmp_eq_u32_e32 vcc_lo, 0, v2
	s_and_b32 s77, vcc_lo, exec_lo
	s_delay_alu instid0(SALU_CYCLE_1)
	s_or_b32 s76, s76, s77
	s_mov_b32 s78, -1
	s_or_b32 s74, s74, exec_lo
	s_and_saveexec_b32 s77, s76
	s_cbranch_execz .LBB2_971
.LBB2_975:                              ;   in Loop: Header=BB2_972 Depth=4
	s_sleep 1
	s_trap 2
	ds_load_b64 v[8:9], v2
	s_wait_dscnt 0x0
	s_and_not1_b32 s74, s74, exec_lo
	v_cmp_ge_u64_e32 vcc_lo, v[8:9], v[12:13]
	s_or_not1_b32 s78, vcc_lo, exec_lo
	s_branch .LBB2_971
.LBB2_976:                              ;   in Loop: Header=BB2_806 Depth=3
	s_or_b32 exec_lo, exec_lo, s17
	s_and_saveexec_b32 s17, s47
	s_delay_alu instid0(SALU_CYCLE_1)
	s_xor_b32 s17, exec_lo, s17
	s_cbranch_execz .LBB2_978
; %bb.977:                              ;   in Loop: Header=BB2_806 Depth=3
	ds_store_b32 v2, v75
	s_trap 2
.LBB2_978:                              ;   in Loop: Header=BB2_806 Depth=3
	s_or_b32 exec_lo, exec_lo, s16
	;;#ASMSTART
	s_wakeup
	;;#ASMEND
.LBB2_979:                              ;   in Loop: Header=BB2_806 Depth=3
	s_or_b32 exec_lo, exec_lo, s15
.LBB2_980:                              ;   in Loop: Header=BB2_806 Depth=3
	s_and_not1_saveexec_b32 s14, s14
	s_cbranch_execz .LBB2_982
; %bb.981:                              ;   in Loop: Header=BB2_806 Depth=3
	;;#ASMSTART
	s_waitcnt lgkmcnt(0) vmcnt(0)
	;;#ASMEND
	s_barrier_signal -1
	s_barrier_wait -1
.LBB2_982:                              ;   in Loop: Header=BB2_806 Depth=3
	s_or_b32 exec_lo, exec_lo, s14
	v_and_b32_e32 v2, 16, v30
.LBB2_983:                              ;   in Loop: Header=BB2_806 Depth=3
	s_or_b32 exec_lo, exec_lo, s13
	s_delay_alu instid0(VALU_DEP_1) | instskip(SKIP_1) | instid1(SALU_CYCLE_1)
	v_cmp_ne_u32_e32 vcc_lo, 0, v2
	s_xor_b32 s13, s4, -1
	s_and_b32 s14, vcc_lo, s13
	s_delay_alu instid0(SALU_CYCLE_1)
	s_and_saveexec_b32 s13, s14
	s_cbranch_execz .LBB2_985
; %bb.984:                              ;   in Loop: Header=BB2_806 Depth=3
	global_wb scope:SCOPE_SYS
	s_wait_storecnt 0x0
	s_wait_loadcnt_dscnt 0x0
	flat_store_b32 v[26:27], v75 scope:SCOPE_SYS
.LBB2_985:                              ;   in Loop: Header=BB2_806 Depth=3
	s_wait_xcnt 0x0
	s_or_b32 exec_lo, exec_lo, s13
	v_and_b32_e32 v2, 48, v30
	s_mov_b32 s13, exec_lo
	s_delay_alu instid0(VALU_DEP_1)
	v_cmpx_ne_u32_e32 0, v2
	s_cbranch_execz .LBB2_805
; %bb.986:                              ;   in Loop: Header=BB2_806 Depth=3
	v_add_nc_u64_e32 v[98:99], 2, v[98:99]
	global_wb scope:SCOPE_SYS
	s_wait_storecnt 0x0
	s_wait_loadcnt_dscnt 0x0
	flat_store_b64 v[20:21], v[98:99] scope:SCOPE_SYS
	s_branch .LBB2_805
.LBB2_987:                              ;   in Loop: Header=BB2_803 Depth=2
	s_or_b32 exec_lo, exec_lo, s44
.LBB2_988:                              ;   in Loop: Header=BB2_803 Depth=2
	s_delay_alu instid0(SALU_CYCLE_1) | instskip(NEXT) | instid1(SALU_CYCLE_1)
	s_or_b32 exec_lo, exec_lo, s41
	s_mov_b32 s14, exec_lo
	v_cmpx_gt_i32_e32 2, v2
	s_cbranch_execz .LBB2_1064
; %bb.989:                              ;   in Loop: Header=BB2_803 Depth=2
	v_cmp_eq_u32_e64 s16, 0, v2
	s_mov_b32 s15, 0
	s_branch .LBB2_991
.LBB2_990:                              ;   in Loop: Header=BB2_991 Depth=3
	s_wait_xcnt 0x0
	s_or_b32 exec_lo, exec_lo, s13
	v_add_nc_u32_e32 v114, v112, v114
	s_mov_b32 s16, 0
	s_and_not1_b32 exec_lo, exec_lo, s15
	s_cbranch_execz .LBB2_1063
.LBB2_991:                              ;   Parent Loop BB2_47 Depth=1
                                        ;     Parent Loop BB2_803 Depth=2
                                        ; =>    This Loop Header: Depth=3
                                        ;         Child Loop BB2_997 Depth 4
                                        ;         Child Loop BB2_1025 Depth 4
	;; [unrolled: 1-line block ×3, first 2 shown]
	s_delay_alu instid0(VALU_DEP_1) | instskip(SKIP_2) | instid1(VALU_DEP_2)
	v_sub_nc_u32_e32 v2, v58, v114
	v_and_b32_e32 v8, 12, v30
	s_mov_b32 s17, exec_lo
	v_min_i32_e32 v112, v112, v2
	s_delay_alu instid0(VALU_DEP_2)
	v_cmpx_ne_u32_e32 0, v8
	s_cbranch_execz .LBB2_1017
; %bb.992:                              ;   in Loop: Header=BB2_991 Depth=3
	v_and_b32_e32 v2, 8, v30
	v_add_nc_u64_e32 v[8:9], 2, v[98:99]
	s_mov_b32 s41, exec_lo
	s_wait_loadcnt_dscnt 0x1
	s_delay_alu instid0(VALU_DEP_2) | instskip(NEXT) | instid1(VALU_DEP_1)
	v_add_nc_u64_e32 v[10:11], v[28:29], v[2:3]
	v_cmpx_lt_u64_e64 v[10:11], v[8:9]
	s_cbranch_execz .LBB2_1004
; %bb.993:                              ;   in Loop: Header=BB2_991 Depth=3
	v_and_b32_e32 v10, 64, v30
	s_mov_b32 s44, 0
	s_mov_b32 s74, 0
                                        ; implicit-def: $sgpr45
                                        ; implicit-def: $sgpr46
                                        ; implicit-def: $sgpr47
	s_delay_alu instid0(VALU_DEP_1)
	v_cmp_eq_u32_e32 vcc_lo, 0, v10
	s_branch .LBB2_997
.LBB2_994:                              ;   in Loop: Header=BB2_997 Depth=4
	s_wait_loadcnt_dscnt 0x0
	v_add_nc_u64_e32 v[116:117], v[28:29], v[2:3]
	s_or_b32 s77, s77, exec_lo
	s_delay_alu instid0(VALU_DEP_1)
	v_cmp_ge_u64_e64 s13, v[116:117], v[8:9]
	s_or_not1_b32 s76, s13, exec_lo
.LBB2_995:                              ;   in Loop: Header=BB2_997 Depth=4
	s_or_b32 exec_lo, exec_lo, s79
	s_delay_alu instid0(SALU_CYCLE_1)
	s_and_not1_b32 s13, s47, exec_lo
	s_and_b32 s47, s77, exec_lo
	s_and_not1_b32 s46, s46, exec_lo
	s_and_b32 s76, s76, exec_lo
	s_or_b32 s47, s13, s47
	s_or_b32 s46, s46, s76
.LBB2_996:                              ;   in Loop: Header=BB2_997 Depth=4
	s_or_b32 exec_lo, exec_lo, s75
	s_delay_alu instid0(SALU_CYCLE_1) | instskip(NEXT) | instid1(SALU_CYCLE_1)
	s_and_b32 s13, exec_lo, s46
	s_or_b32 s44, s13, s44
	s_and_not1_b32 s13, s45, exec_lo
	s_and_b32 s45, s47, exec_lo
	s_delay_alu instid0(SALU_CYCLE_1)
	s_or_b32 s45, s13, s45
	s_and_not1_b32 exec_lo, exec_lo, s44
	s_cbranch_execz .LBB2_1001
.LBB2_997:                              ;   Parent Loop BB2_47 Depth=1
                                        ;     Parent Loop BB2_803 Depth=2
                                        ;       Parent Loop BB2_991 Depth=3
                                        ; =>      This Inner Loop Header: Depth=4
	s_sleep 1
	s_wait_loadcnt_dscnt 0x0
	flat_load_b64 v[28:29], v[20:21] scope:SCOPE_SYS
	s_or_b32 s47, s47, exec_lo
	s_or_b32 s46, s46, exec_lo
                                        ; implicit-def: $vgpr10
	s_wait_xcnt 0x0
	s_and_saveexec_b32 s75, vcc_lo
	s_cbranch_execz .LBB2_996
; %bb.998:                              ;   in Loop: Header=BB2_997 Depth=4
	s_cmp_lt_i32 s74, 0x270f
	s_mov_b32 s76, -1
	s_cselect_b32 s78, -1, 0
	s_cmp_gt_i32 s74, 0x270e
	s_cbranch_scc0 .LBB2_1000
; %bb.999:                              ;   in Loop: Header=BB2_997 Depth=4
	s_trap 2
	ds_load_b64 v[10:11], v11
	s_and_not1_b32 s74, s78, exec_lo
	s_mov_b32 s77, 0
	s_wait_storecnt 0x0
	s_wait_loadcnt_dscnt 0x0
	flat_load_b32 v10, v[10:11] scope:SCOPE_SYS
	s_wait_loadcnt_dscnt 0x0
	global_inv scope:SCOPE_SYS
	v_cmp_eq_u32_e64 s13, 0, v10
	s_and_b32 s13, s13, exec_lo
	s_delay_alu instid0(SALU_CYCLE_1)
	s_or_b32 s78, s74, s13
	s_mov_b32 s74, 0
	s_and_saveexec_b32 s79, s78
	s_cbranch_execz .LBB2_995
	s_branch .LBB2_994
.LBB2_1000:                             ;   in Loop: Header=BB2_997 Depth=4
	s_add_co_i32 s74, s74, 1
	s_mov_b32 s77, -1
                                        ; implicit-def: $vgpr10
	s_and_saveexec_b32 s79, s78
	s_cbranch_execz .LBB2_995
	s_branch .LBB2_994
.LBB2_1001:                             ;   in Loop: Header=BB2_991 Depth=3
	s_or_b32 exec_lo, exec_lo, s44
	s_xor_b32 s13, s45, -1
	s_delay_alu instid0(SALU_CYCLE_1) | instskip(NEXT) | instid1(SALU_CYCLE_1)
	s_and_saveexec_b32 s44, s13
	s_xor_b32 s13, exec_lo, s44
	s_cbranch_execz .LBB2_1003
; %bb.1002:                             ;   in Loop: Header=BB2_991 Depth=3
	v_or_b32_e32 v30, 64, v30
	s_wait_storecnt 0x0
	s_wait_loadcnt_dscnt 0x0
	ds_store_b32 v11, v10
	s_trap 2
.LBB2_1003:                             ;   in Loop: Header=BB2_991 Depth=3
	s_or_b32 exec_lo, exec_lo, s13
.LBB2_1004:                             ;   in Loop: Header=BB2_991 Depth=3
	s_delay_alu instid0(SALU_CYCLE_1) | instskip(SKIP_2) | instid1(VALU_DEP_1)
	s_or_b32 exec_lo, exec_lo, s41
	v_and_b32_e32 v10, 0x108, v30
	;;#ASMSTART
	s_wakeup
	;;#ASMEND
	v_cmp_ne_u32_e32 vcc_lo, 0x108, v10
                                        ; implicit-def: $vgpr10_vgpr11
	s_and_saveexec_b32 s13, vcc_lo
	s_delay_alu instid0(SALU_CYCLE_1)
	s_xor_b32 s13, exec_lo, s13
; %bb.1005:                             ;   in Loop: Header=BB2_991 Depth=3
	v_dual_mov_b32 v11, v3 :: v_dual_bitop2_b32 v10, 7, v98 bitop3:0x40
                                        ; implicit-def: $vgpr98_vgpr99
; %bb.1006:                             ;   in Loop: Header=BB2_991 Depth=3
	s_and_not1_saveexec_b32 s13, s13
	s_cbranch_execz .LBB2_1008
; %bb.1007:                             ;   in Loop: Header=BB2_991 Depth=3
	v_dual_ashrrev_i32 v113, 31, v112 :: v_dual_bitop2_b32 v10, 7, v98 bitop3:0x40
	v_mov_b32_e32 v11, v3
	s_delay_alu instid0(VALU_DEP_2) | instskip(NEXT) | instid1(VALU_DEP_3)
	v_mad_nc_u64_u32 v[98:99], v10, 24, v[6:7]
	v_lshlrev_b64_e32 v[116:117], 3, v[112:113]
	flat_store_b64 v[98:99], v[116:117] offset:8
.LBB2_1008:                             ;   in Loop: Header=BB2_991 Depth=3
	s_wait_xcnt 0x0
	s_or_b32 exec_lo, exec_lo, s13
	v_and_b32_e32 v98, 0x100, v30
	s_mov_b32 s13, -1
	s_delay_alu instid0(VALU_DEP_1)
	v_cmp_ne_u32_e32 vcc_lo, 0, v98
                                        ; implicit-def: $vgpr98_vgpr99
	s_and_saveexec_b32 s41, vcc_lo
	s_cbranch_execz .LBB2_1012
; %bb.1009:                             ;   in Loop: Header=BB2_991 Depth=3
	v_mad_nc_u64_u32 v[116:117], v10, 24, v[6:7]
	s_delay_alu instid0(VALU_DEP_1)
	v_mad_u32 v117, v11, 24, v117
	flat_load_b32 v98, v[116:117]
	s_wait_loadcnt_dscnt 0x0
	v_cmp_eq_u32_e64 s13, 1, v98
	v_cmp_ne_u32_e32 vcc_lo, 1, v98
                                        ; implicit-def: $vgpr98_vgpr99
	s_wait_xcnt 0x0
	s_and_saveexec_b32 s44, s13
	s_cbranch_execz .LBB2_1011
; %bb.1010:                             ;   in Loop: Header=BB2_991 Depth=3
	flat_load_b32 v98, v[116:117] offset:4 scope:SCOPE_SYS
	s_wait_loadcnt_dscnt 0x0
	v_ashrrev_i32_e32 v99, 31, v98
	s_delay_alu instid0(VALU_DEP_1)
	v_lshrrev_b64 v[98:99], 3, v[98:99]
.LBB2_1011:                             ;   in Loop: Header=BB2_991 Depth=3
	s_wait_xcnt 0x0
	s_or_b32 exec_lo, exec_lo, s44
	s_delay_alu instid0(SALU_CYCLE_1)
	s_or_not1_b32 s13, vcc_lo, exec_lo
.LBB2_1012:                             ;   in Loop: Header=BB2_991 Depth=3
	s_or_b32 exec_lo, exec_lo, s41
	s_and_saveexec_b32 s41, s13
; %bb.1013:                             ;   in Loop: Header=BB2_991 Depth=3
	v_mul_u64_e32 v[98:99], v[10:11], v[22:23]
; %bb.1014:                             ;   in Loop: Header=BB2_991 Depth=3
	s_or_b32 exec_lo, exec_lo, s41
	v_cmp_eq_u32_e32 vcc_lo, 0, v2
	v_and_b32_e32 v113, 0x2000, v30
	s_delay_alu instid0(VALU_DEP_3) | instskip(SKIP_2) | instid1(VALU_DEP_1)
	v_lshl_add_u64 v[10:11], v[98:99], 3, v[24:25]
	s_mov_b32 s13, exec_lo
	v_cndmask_b32_e32 v2, 0xd0, v77, vcc_lo
	v_add_nc_u32_e32 v2, v0, v2
	ds_store_b64 v2, v[10:11] offset:584
	v_cmpx_ne_u32_e32 0, v113
	s_cbranch_execz .LBB2_1016
; %bb.1015:                             ;   in Loop: Header=BB2_991 Depth=3
	ds_load_b64 v[10:11], v0 offset:872
	s_wait_dscnt 0x0
	v_add_nc_u64_e32 v[10:11], 1, v[10:11]
	ds_store_b64 v0, v[10:11] offset:872
.LBB2_1016:                             ;   in Loop: Header=BB2_991 Depth=3
	s_or_b32 exec_lo, exec_lo, s13
	v_mov_b64_e32 v[98:99], v[8:9]
.LBB2_1017:                             ;   in Loop: Header=BB2_991 Depth=3
	s_or_b32 exec_lo, exec_lo, s17
	s_xor_b32 s13, s16, -1
	s_delay_alu instid0(SALU_CYCLE_1) | instskip(NEXT) | instid1(SALU_CYCLE_1)
	s_and_b32 s13, exec_lo, s13
	s_or_b32 s15, s13, s15
	s_and_saveexec_b32 s13, s2
	s_cbranch_execz .LBB2_1036
; %bb.1018:                             ;   in Loop: Header=BB2_991 Depth=3
	s_and_saveexec_b32 s16, s3
	s_delay_alu instid0(SALU_CYCLE_1)
	s_xor_b32 s16, exec_lo, s16
	s_cbranch_execz .LBB2_1033
; %bb.1019:                             ;   in Loop: Header=BB2_991 Depth=3
	s_and_saveexec_b32 s17, s6
	s_cbranch_execz .LBB2_1032
; %bb.1020:                             ;   in Loop: Header=BB2_991 Depth=3
	s_mov_b32 s44, exec_lo
	s_mov_b32 s41, exec_lo
	v_mbcnt_lo_u32_b32 v2, s44, 0
	global_wb scope:SCOPE_DEV
	s_wait_storecnt 0x0
	s_wait_loadcnt_dscnt 0x0
	global_inv scope:SCOPE_DEV
	v_cmpx_eq_u32_e32 0, v2
	s_cbranch_execz .LBB2_1022
; %bb.1021:                             ;   in Loop: Header=BB2_991 Depth=3
	s_bcnt1_i32_b32 s44, s44
	s_delay_alu instid0(SALU_CYCLE_1)
	v_mov_b32_e32 v2, s44
	s_wait_loadcnt 0x0
	ds_add_u64 v2, v[2:3]
	s_trap 2
.LBB2_1022:                             ;   in Loop: Header=BB2_991 Depth=3
	s_or_b32 exec_lo, exec_lo, s41
	s_trap 2
	ds_load_b64 v[8:9], v2
	s_wait_dscnt 0x0
	v_add_nc_u64_e32 v[12:13], v[12:13], v[32:33]
	s_mov_b32 s41, exec_lo
	s_delay_alu instid0(VALU_DEP_1)
	v_cmpx_lt_u64_e64 v[8:9], v[12:13]
	s_cbranch_execz .LBB2_1031
; %bb.1023:                             ;   in Loop: Header=BB2_991 Depth=3
	s_mov_b32 s44, 0
	s_mov_b32 s47, 0
                                        ; implicit-def: $sgpr45
                                        ; implicit-def: $sgpr46
	s_branch .LBB2_1025
.LBB2_1024:                             ;   in Loop: Header=BB2_1025 Depth=4
	s_or_b32 exec_lo, exec_lo, s75
	s_delay_alu instid0(SALU_CYCLE_1) | instskip(NEXT) | instid1(SALU_CYCLE_1)
	s_and_b32 s74, exec_lo, s76
	s_or_b32 s44, s74, s44
	s_and_not1_b32 s45, s45, exec_lo
	s_and_b32 s74, s46, exec_lo
	s_delay_alu instid0(SALU_CYCLE_1)
	s_or_b32 s45, s45, s74
	s_and_not1_b32 exec_lo, exec_lo, s44
	s_cbranch_execz .LBB2_1029
.LBB2_1025:                             ;   Parent Loop BB2_47 Depth=1
                                        ;     Parent Loop BB2_803 Depth=2
                                        ;       Parent Loop BB2_991 Depth=3
                                        ; =>      This Inner Loop Header: Depth=4
	s_add_co_i32 s47, s47, 1
	s_delay_alu instid0(SALU_CYCLE_1) | instskip(SKIP_1) | instid1(SALU_CYCLE_1)
	s_cmp_lg_u32 s47, 0x2710
	s_cselect_b32 s74, -1, 0
	s_and_b32 vcc_lo, exec_lo, s74
	s_cbranch_vccz .LBB2_1027
; %bb.1026:                             ;   in Loop: Header=BB2_1025 Depth=4
	s_mov_b32 s76, -1
	s_or_b32 s46, s46, exec_lo
	s_and_saveexec_b32 s75, s74
	s_cbranch_execz .LBB2_1024
	s_branch .LBB2_1028
.LBB2_1027:                             ;   in Loop: Header=BB2_1025 Depth=4
	s_trap 2
	ds_load_b64 v[8:9], v2
	s_and_not1_b32 s74, s74, exec_lo
	s_mov_b32 s47, 0
	s_wait_loadcnt_dscnt 0x0
	flat_load_b32 v2, v[8:9] scope:SCOPE_SYS
	s_wait_loadcnt_dscnt 0x0
	global_inv scope:SCOPE_SYS
	v_cmp_eq_u32_e32 vcc_lo, 0, v2
	s_and_b32 s75, vcc_lo, exec_lo
	s_delay_alu instid0(SALU_CYCLE_1)
	s_or_b32 s74, s74, s75
	s_mov_b32 s76, -1
	s_or_b32 s46, s46, exec_lo
	s_and_saveexec_b32 s75, s74
	s_cbranch_execz .LBB2_1024
.LBB2_1028:                             ;   in Loop: Header=BB2_1025 Depth=4
	s_sleep 1
	s_trap 2
	ds_load_b64 v[8:9], v2
	s_wait_dscnt 0x0
	s_and_not1_b32 s46, s46, exec_lo
	v_cmp_ge_u64_e32 vcc_lo, v[8:9], v[12:13]
	s_or_not1_b32 s76, vcc_lo, exec_lo
	s_branch .LBB2_1024
.LBB2_1029:                             ;   in Loop: Header=BB2_991 Depth=3
	s_or_b32 exec_lo, exec_lo, s44
	s_and_saveexec_b32 s44, s45
	s_delay_alu instid0(SALU_CYCLE_1)
	s_xor_b32 s44, exec_lo, s44
	s_cbranch_execz .LBB2_1031
; %bb.1030:                             ;   in Loop: Header=BB2_991 Depth=3
	ds_store_b32 v2, v75
	s_trap 2
.LBB2_1031:                             ;   in Loop: Header=BB2_991 Depth=3
	s_or_b32 exec_lo, exec_lo, s41
	;;#ASMSTART
	s_wakeup
	;;#ASMEND
.LBB2_1032:                             ;   in Loop: Header=BB2_991 Depth=3
	s_or_b32 exec_lo, exec_lo, s17
.LBB2_1033:                             ;   in Loop: Header=BB2_991 Depth=3
	s_and_not1_saveexec_b32 s16, s16
	s_cbranch_execz .LBB2_1035
; %bb.1034:                             ;   in Loop: Header=BB2_991 Depth=3
	global_wb scope:SCOPE_DEV
	s_wait_storecnt 0x0
	s_wait_loadcnt_dscnt 0x0
	global_inv scope:SCOPE_DEV
	s_barrier_signal -1
	s_barrier_wait -1
.LBB2_1035:                             ;   in Loop: Header=BB2_991 Depth=3
	s_or_b32 exec_lo, exec_lo, s16
.LBB2_1036:                             ;   in Loop: Header=BB2_991 Depth=3
	s_delay_alu instid0(SALU_CYCLE_1) | instskip(SKIP_1) | instid1(SALU_CYCLE_1)
	s_or_b32 exec_lo, exec_lo, s13
                                        ; implicit-def: $vgpr2
	s_and_saveexec_b32 s13, s12
	s_xor_b32 s16, exec_lo, s13
	s_cbranch_execz .LBB2_1040
; %bb.1037:                             ;   in Loop: Header=BB2_991 Depth=3
	s_trap 2
	ds_load_b32 v2, v8
	v_cmp_lt_i32_e32 vcc_lo, 0, v112
	s_wait_dscnt 0x0
	v_readfirstlane_b32 s13, v2
	v_and_b32_e32 v2, 16, v30
	s_cmp_eq_u32 s13, 0
	s_delay_alu instid0(VALU_DEP_1) | instskip(SKIP_3) | instid1(SALU_CYCLE_1)
	v_cmp_ne_u32_e64 s13, 0, v2
	s_cselect_b32 s17, -1, 0
	v_and_b32_e32 v2, 16, v30
	s_and_b32 s17, vcc_lo, s17
	s_and_b32 s17, s13, s17
	s_delay_alu instid0(SALU_CYCLE_1)
	s_and_saveexec_b32 s13, s17
	s_cbranch_execz .LBB2_1039
; %bb.1038:                             ;   in Loop: Header=BB2_991 Depth=3
	v_mov_b32_e32 v2, 1
	global_wb scope:SCOPE_SYS
	s_wait_loadcnt 0x0
	s_wait_storecnt 0x0
	global_inv scope:SCOPE_SYS
.LBB2_1039:                             ;   in Loop: Header=BB2_991 Depth=3
	s_or_b32 exec_lo, exec_lo, s13
	s_and_not1_saveexec_b32 s13, s16
	s_cbranch_execz .LBB2_1059
	s_branch .LBB2_1041
.LBB2_1040:                             ;   in Loop: Header=BB2_991 Depth=3
	s_and_not1_saveexec_b32 s13, s16
	s_cbranch_execz .LBB2_1059
.LBB2_1041:                             ;   in Loop: Header=BB2_991 Depth=3
	s_and_saveexec_b32 s16, s3
	s_delay_alu instid0(SALU_CYCLE_1)
	s_xor_b32 s16, exec_lo, s16
	s_cbranch_execz .LBB2_1056
; %bb.1042:                             ;   in Loop: Header=BB2_991 Depth=3
	s_and_saveexec_b32 s17, s6
	s_cbranch_execz .LBB2_1055
; %bb.1043:                             ;   in Loop: Header=BB2_991 Depth=3
	s_mov_b32 s44, exec_lo
	s_mov_b32 s41, exec_lo
	v_mbcnt_lo_u32_b32 v2, s44, 0
	;;#ASMSTART
	s_waitcnt lgkmcnt(0) vmcnt(0)
	;;#ASMEND
	s_delay_alu instid0(VALU_DEP_1)
	v_cmpx_eq_u32_e32 0, v2
	s_cbranch_execz .LBB2_1045
; %bb.1044:                             ;   in Loop: Header=BB2_991 Depth=3
	s_bcnt1_i32_b32 s44, s44
	s_delay_alu instid0(SALU_CYCLE_1)
	v_mov_b32_e32 v2, s44
	s_wait_storecnt 0x0
	s_wait_loadcnt_dscnt 0x0
	ds_add_u64 v2, v[2:3]
	s_trap 2
.LBB2_1045:                             ;   in Loop: Header=BB2_991 Depth=3
	s_or_b32 exec_lo, exec_lo, s41
	s_trap 2
	ds_load_b64 v[8:9], v2
	s_wait_dscnt 0x0
	v_add_nc_u64_e32 v[12:13], v[12:13], v[32:33]
	s_mov_b32 s41, exec_lo
	s_delay_alu instid0(VALU_DEP_1)
	v_cmpx_lt_u64_e64 v[8:9], v[12:13]
	s_cbranch_execz .LBB2_1054
; %bb.1046:                             ;   in Loop: Header=BB2_991 Depth=3
	s_mov_b32 s44, 0
	s_mov_b32 s47, 0
                                        ; implicit-def: $sgpr45
                                        ; implicit-def: $sgpr46
	s_branch .LBB2_1048
.LBB2_1047:                             ;   in Loop: Header=BB2_1048 Depth=4
	s_or_b32 exec_lo, exec_lo, s75
	s_delay_alu instid0(SALU_CYCLE_1) | instskip(NEXT) | instid1(SALU_CYCLE_1)
	s_and_b32 s74, exec_lo, s76
	s_or_b32 s44, s74, s44
	s_and_not1_b32 s45, s45, exec_lo
	s_and_b32 s74, s46, exec_lo
	s_delay_alu instid0(SALU_CYCLE_1)
	s_or_b32 s45, s45, s74
	s_and_not1_b32 exec_lo, exec_lo, s44
	s_cbranch_execz .LBB2_1052
.LBB2_1048:                             ;   Parent Loop BB2_47 Depth=1
                                        ;     Parent Loop BB2_803 Depth=2
                                        ;       Parent Loop BB2_991 Depth=3
                                        ; =>      This Inner Loop Header: Depth=4
	s_add_co_i32 s47, s47, 1
	s_delay_alu instid0(SALU_CYCLE_1) | instskip(SKIP_1) | instid1(SALU_CYCLE_1)
	s_cmp_lg_u32 s47, 0x2710
	s_cselect_b32 s74, -1, 0
	s_and_b32 vcc_lo, exec_lo, s74
	s_cbranch_vccz .LBB2_1050
; %bb.1049:                             ;   in Loop: Header=BB2_1048 Depth=4
	s_mov_b32 s76, -1
	s_or_b32 s46, s46, exec_lo
	s_and_saveexec_b32 s75, s74
	s_cbranch_execz .LBB2_1047
	s_branch .LBB2_1051
.LBB2_1050:                             ;   in Loop: Header=BB2_1048 Depth=4
	s_trap 2
	ds_load_b64 v[8:9], v2
	s_and_not1_b32 s74, s74, exec_lo
	s_mov_b32 s47, 0
	s_wait_storecnt 0x0
	s_wait_loadcnt_dscnt 0x0
	flat_load_b32 v2, v[8:9] scope:SCOPE_SYS
	s_wait_loadcnt_dscnt 0x0
	global_inv scope:SCOPE_SYS
	v_cmp_eq_u32_e32 vcc_lo, 0, v2
	s_and_b32 s75, vcc_lo, exec_lo
	s_delay_alu instid0(SALU_CYCLE_1)
	s_or_b32 s74, s74, s75
	s_mov_b32 s76, -1
	s_or_b32 s46, s46, exec_lo
	s_and_saveexec_b32 s75, s74
	s_cbranch_execz .LBB2_1047
.LBB2_1051:                             ;   in Loop: Header=BB2_1048 Depth=4
	s_sleep 1
	s_trap 2
	ds_load_b64 v[8:9], v2
	s_wait_dscnt 0x0
	s_and_not1_b32 s46, s46, exec_lo
	v_cmp_ge_u64_e32 vcc_lo, v[8:9], v[12:13]
	s_or_not1_b32 s76, vcc_lo, exec_lo
	s_branch .LBB2_1047
.LBB2_1052:                             ;   in Loop: Header=BB2_991 Depth=3
	s_or_b32 exec_lo, exec_lo, s44
	s_and_saveexec_b32 s44, s45
	s_delay_alu instid0(SALU_CYCLE_1)
	s_xor_b32 s44, exec_lo, s44
	s_cbranch_execz .LBB2_1054
; %bb.1053:                             ;   in Loop: Header=BB2_991 Depth=3
	ds_store_b32 v2, v75
	s_trap 2
.LBB2_1054:                             ;   in Loop: Header=BB2_991 Depth=3
	s_or_b32 exec_lo, exec_lo, s41
	;;#ASMSTART
	s_wakeup
	;;#ASMEND
.LBB2_1055:                             ;   in Loop: Header=BB2_991 Depth=3
	s_or_b32 exec_lo, exec_lo, s17
.LBB2_1056:                             ;   in Loop: Header=BB2_991 Depth=3
	s_and_not1_saveexec_b32 s16, s16
	s_cbranch_execz .LBB2_1058
; %bb.1057:                             ;   in Loop: Header=BB2_991 Depth=3
	;;#ASMSTART
	s_waitcnt lgkmcnt(0) vmcnt(0)
	;;#ASMEND
	s_barrier_signal -1
	s_barrier_wait -1
.LBB2_1058:                             ;   in Loop: Header=BB2_991 Depth=3
	s_or_b32 exec_lo, exec_lo, s16
	v_and_b32_e32 v2, 16, v30
.LBB2_1059:                             ;   in Loop: Header=BB2_991 Depth=3
	s_or_b32 exec_lo, exec_lo, s13
	s_delay_alu instid0(VALU_DEP_1) | instskip(SKIP_1) | instid1(SALU_CYCLE_1)
	v_cmp_ne_u32_e32 vcc_lo, 0, v2
	s_xor_b32 s13, s4, -1
	s_and_b32 s16, vcc_lo, s13
	s_delay_alu instid0(SALU_CYCLE_1)
	s_and_saveexec_b32 s13, s16
	s_cbranch_execz .LBB2_1061
; %bb.1060:                             ;   in Loop: Header=BB2_991 Depth=3
	global_wb scope:SCOPE_SYS
	s_wait_storecnt 0x0
	s_wait_loadcnt_dscnt 0x0
	flat_store_b32 v[26:27], v75 scope:SCOPE_SYS
.LBB2_1061:                             ;   in Loop: Header=BB2_991 Depth=3
	s_wait_xcnt 0x0
	s_or_b32 exec_lo, exec_lo, s13
	v_and_b32_e32 v2, 48, v30
	s_mov_b32 s13, exec_lo
	s_delay_alu instid0(VALU_DEP_1)
	v_cmpx_ne_u32_e32 0, v2
	s_cbranch_execz .LBB2_990
; %bb.1062:                             ;   in Loop: Header=BB2_991 Depth=3
	v_add_nc_u64_e32 v[98:99], 2, v[98:99]
	global_wb scope:SCOPE_SYS
	s_wait_storecnt 0x0
	s_wait_loadcnt_dscnt 0x0
	flat_store_b64 v[20:21], v[98:99] scope:SCOPE_SYS
	s_branch .LBB2_990
.LBB2_1063:                             ;   in Loop: Header=BB2_803 Depth=2
	s_or_b32 exec_lo, exec_lo, s15
.LBB2_1064:                             ;   in Loop: Header=BB2_803 Depth=2
	s_delay_alu instid0(SALU_CYCLE_1)
	s_or_b32 exec_lo, exec_lo, s14
	s_add_co_i32 s13, s20, 1
	s_cmp_eq_u32 s20, s62
	s_cbranch_scc1 .LBB2_1066
; %bb.1065:                             ;   in Loop: Header=BB2_803 Depth=2
	s_mov_b32 s20, s13
	s_branch .LBB2_803
.LBB2_1066:                             ;   in Loop: Header=BB2_47 Depth=1
	v_mul_u64_e32 v[10:11], s[42:43], v[96:97]
	s_delay_alu instid0(VALU_DEP_1) | instskip(NEXT) | instid1(VALU_DEP_1)
	v_sub_nc_u64_e32 v[8:9], v[100:101], v[10:11]
	v_min_i64 v[8:9], v[96:97], v[8:9]
	s_delay_alu instid0(VALU_DEP_1) | instskip(SKIP_1) | instid1(VALU_DEP_2)
	v_max_i32_e32 v114, 0, v8
	v_cmp_lt_i32_e32 vcc_lo, 0, v8
	v_dual_mov_b32 v8, 0 :: v_dual_add_nc_u32 v2, 31, v114
	s_and_b32 s13, s63, vcc_lo
	s_delay_alu instid0(VALU_DEP_1) | instskip(NEXT) | instid1(VALU_DEP_1)
	v_lshrrev_b32_e32 v2, 1, v2
	v_and_b32_e32 v9, 0x3ffffff0, v2
	s_delay_alu instid0(VALU_DEP_1)
	v_dual_mov_b32 v2, 0 :: v_dual_max_i32 v115, s59, v9
	s_and_saveexec_b32 s14, s13
	s_cbranch_execz .LBB2_1206
; %bb.1067:                             ;   in Loop: Header=BB2_47 Depth=1
	v_add_nc_u64_e32 v[8:9], v[10:11], v[102:103]
	s_mov_b32 s17, 1
	s_mov_b32 s16, -1
	s_mov_b32 s15, 0
	s_delay_alu instid0(VALU_DEP_1)
	v_lshlrev_b64_e32 v[10:11], 3, v[8:9]
	v_mov_b32_e32 v8, 0
	s_branch .LBB2_1069
.LBB2_1068:                             ;   in Loop: Header=BB2_1069 Depth=2
	s_wait_xcnt 0x0
	s_or_b32 exec_lo, exec_lo, s13
	v_dual_add_nc_u32 v8, v115, v8 :: v_dual_mov_b32 v2, s17
	s_xor_b32 s13, s16, -1
	s_mov_b32 s16, 0
	s_mov_b32 s17, 2
	s_delay_alu instid0(VALU_DEP_1) | instskip(SKIP_1) | instid1(SALU_CYCLE_1)
	v_cmp_ge_i32_e32 vcc_lo, v8, v114
	s_or_b32 s13, s13, vcc_lo
	s_and_b32 s13, exec_lo, s13
	s_delay_alu instid0(SALU_CYCLE_1) | instskip(NEXT) | instid1(SALU_CYCLE_1)
	s_or_b32 s15, s13, s15
	s_and_not1_b32 exec_lo, exec_lo, s15
	s_cbranch_execz .LBB2_1205
.LBB2_1069:                             ;   Parent Loop BB2_47 Depth=1
                                        ; =>  This Loop Header: Depth=2
                                        ;       Child Loop BB2_1077 Depth 3
                                        ;       Child Loop BB2_1101 Depth 3
	;; [unrolled: 1-line block ×9, first 2 shown]
	s_and_saveexec_b32 s13, s0
	s_cbranch_execz .LBB2_1071
; %bb.1070:                             ;   in Loop: Header=BB2_1069 Depth=2
	s_trap 2
	ds_load_b128 v[100:103], v2
	s_wait_dscnt 0x0
	v_cmp_ne_u64_e32 vcc_lo, 0, v[102:103]
	v_ashrrev_i32_e32 v9, 31, v8
	v_add_nc_u64_e32 v[116:117], v[102:103], v[10:11]
	v_add_nc_u64_e32 v[100:101], v[100:101], v[10:11]
	s_delay_alu instid0(VALU_DEP_3) | instskip(NEXT) | instid1(VALU_DEP_1)
	v_lshlrev_b64_e32 v[112:113], 3, v[8:9]
	v_add_nc_u64_e32 v[116:117], v[116:117], v[112:113]
	s_delay_alu instid0(VALU_DEP_3) | instskip(NEXT) | instid1(VALU_DEP_2)
	v_add_nc_u64_e32 v[100:101], v[100:101], v[112:113]
	v_dual_cndmask_b32 v103, 0, v117 :: v_dual_cndmask_b32 v102, 0, v116
	ds_store_b64 v2, v[100:101]
	ds_store_b64 v2, v[102:103]
.LBB2_1071:                             ;   in Loop: Header=BB2_1069 Depth=2
	s_or_b32 exec_lo, exec_lo, s13
	v_and_b32_e32 v2, 4, v30
	s_mov_b32 s20, exec_lo
	s_delay_alu instid0(VALU_DEP_1)
	v_cmpx_ne_u32_e32 0, v2
	s_cbranch_execz .LBB2_1093
; %bb.1072:                             ;   in Loop: Header=BB2_1069 Depth=2
	v_add_nc_u64_e32 v[100:101], 2, v[98:99]
	s_mov_b32 s41, exec_lo
	s_wait_loadcnt_dscnt 0x1
	s_delay_alu instid0(VALU_DEP_1)
	v_cmpx_lt_u64_e64 v[28:29], v[100:101]
	s_cbranch_execz .LBB2_1084
; %bb.1073:                             ;   in Loop: Header=BB2_1069 Depth=2
	v_and_b32_e32 v2, 64, v30
	s_mov_b32 s44, 0
	s_mov_b32 s74, 0
                                        ; implicit-def: $sgpr45
                                        ; implicit-def: $sgpr46
                                        ; implicit-def: $sgpr47
	s_delay_alu instid0(VALU_DEP_1)
	v_cmp_eq_u32_e32 vcc_lo, 0, v2
	s_branch .LBB2_1077
.LBB2_1074:                             ;   in Loop: Header=BB2_1077 Depth=3
	s_wait_loadcnt_dscnt 0x0
	v_cmp_ge_u64_e64 s13, v[28:29], v[100:101]
	s_or_b32 s77, s77, exec_lo
	s_or_not1_b32 s76, s13, exec_lo
.LBB2_1075:                             ;   in Loop: Header=BB2_1077 Depth=3
	s_or_b32 exec_lo, exec_lo, s79
	s_delay_alu instid0(SALU_CYCLE_1)
	s_and_not1_b32 s13, s47, exec_lo
	s_and_b32 s47, s77, exec_lo
	s_and_not1_b32 s46, s46, exec_lo
	s_and_b32 s76, s76, exec_lo
	s_or_b32 s47, s13, s47
	s_or_b32 s46, s46, s76
.LBB2_1076:                             ;   in Loop: Header=BB2_1077 Depth=3
	s_or_b32 exec_lo, exec_lo, s75
	s_delay_alu instid0(SALU_CYCLE_1) | instskip(NEXT) | instid1(SALU_CYCLE_1)
	s_and_b32 s13, exec_lo, s46
	s_or_b32 s44, s13, s44
	s_and_not1_b32 s13, s45, exec_lo
	s_and_b32 s45, s47, exec_lo
	s_delay_alu instid0(SALU_CYCLE_1)
	s_or_b32 s45, s13, s45
	s_and_not1_b32 exec_lo, exec_lo, s44
	s_cbranch_execz .LBB2_1081
.LBB2_1077:                             ;   Parent Loop BB2_47 Depth=1
                                        ;     Parent Loop BB2_1069 Depth=2
                                        ; =>    This Inner Loop Header: Depth=3
	s_sleep 1
	s_wait_loadcnt_dscnt 0x0
	flat_load_b64 v[28:29], v[20:21] scope:SCOPE_SYS
	s_or_b32 s47, s47, exec_lo
	s_or_b32 s46, s46, exec_lo
                                        ; implicit-def: $vgpr2
	s_wait_xcnt 0x0
	s_and_saveexec_b32 s75, vcc_lo
	s_cbranch_execz .LBB2_1076
; %bb.1078:                             ;   in Loop: Header=BB2_1077 Depth=3
	s_cmp_lt_i32 s74, 0x270f
	s_mov_b32 s76, -1
	s_cselect_b32 s78, -1, 0
	s_cmp_gt_i32 s74, 0x270e
	s_cbranch_scc0 .LBB2_1080
; %bb.1079:                             ;   in Loop: Header=BB2_1077 Depth=3
	s_trap 2
	ds_load_b64 v[102:103], v9
	s_and_not1_b32 s74, s78, exec_lo
	s_mov_b32 s77, 0
	s_wait_storecnt 0x0
	s_wait_loadcnt_dscnt 0x0
	flat_load_b32 v2, v[102:103] scope:SCOPE_SYS
	s_wait_loadcnt_dscnt 0x0
	global_inv scope:SCOPE_SYS
	v_cmp_eq_u32_e64 s13, 0, v2
	s_and_b32 s13, s13, exec_lo
	s_delay_alu instid0(SALU_CYCLE_1)
	s_or_b32 s78, s74, s13
	s_mov_b32 s74, 0
	s_and_saveexec_b32 s79, s78
	s_cbranch_execz .LBB2_1075
	s_branch .LBB2_1074
.LBB2_1080:                             ;   in Loop: Header=BB2_1077 Depth=3
	s_add_co_i32 s74, s74, 1
	s_mov_b32 s77, -1
                                        ; implicit-def: $vgpr2
	s_and_saveexec_b32 s79, s78
	s_cbranch_execz .LBB2_1075
	s_branch .LBB2_1074
.LBB2_1081:                             ;   in Loop: Header=BB2_1069 Depth=2
	s_or_b32 exec_lo, exec_lo, s44
	s_xor_b32 s13, s45, -1
	s_delay_alu instid0(SALU_CYCLE_1) | instskip(NEXT) | instid1(SALU_CYCLE_1)
	s_and_saveexec_b32 s44, s13
	s_xor_b32 s13, exec_lo, s44
	s_cbranch_execz .LBB2_1083
; %bb.1082:                             ;   in Loop: Header=BB2_1069 Depth=2
	v_or_b32_e32 v30, 64, v30
	s_wait_storecnt 0x0
	s_wait_loadcnt_dscnt 0x0
	ds_store_b32 v9, v2
	s_trap 2
.LBB2_1083:                             ;   in Loop: Header=BB2_1069 Depth=2
	s_or_b32 exec_lo, exec_lo, s13
.LBB2_1084:                             ;   in Loop: Header=BB2_1069 Depth=2
	s_delay_alu instid0(SALU_CYCLE_1) | instskip(SKIP_3) | instid1(VALU_DEP_1)
	s_or_b32 exec_lo, exec_lo, s41
	v_and_b32_e32 v2, 0x100, v30
	s_mov_b32 s13, -1
	;;#ASMSTART
	s_wakeup
	;;#ASMEND
	v_cmp_ne_u32_e32 vcc_lo, 0, v2
	v_and_b32_e32 v2, 7, v98
                                        ; implicit-def: $vgpr98_vgpr99
	s_and_saveexec_b32 s41, vcc_lo
	s_cbranch_execz .LBB2_1088
; %bb.1085:                             ;   in Loop: Header=BB2_1069 Depth=2
	s_delay_alu instid0(VALU_DEP_1)
	v_mad_nc_u64_u32 v[102:103], v2, 24, v[6:7]
	s_mov_b32 s44, exec_lo
                                        ; implicit-def: $vgpr98_vgpr99
	flat_load_b32 v9, v[102:103]
	s_wait_loadcnt_dscnt 0x0
	v_cmp_ne_u32_e32 vcc_lo, 1, v9
	s_wait_xcnt 0x0
	v_cmpx_eq_u32_e32 1, v9
	s_cbranch_execz .LBB2_1087
; %bb.1086:                             ;   in Loop: Header=BB2_1069 Depth=2
	flat_load_b32 v98, v[102:103] offset:4 scope:SCOPE_SYS
	s_wait_loadcnt_dscnt 0x0
	v_ashrrev_i32_e32 v99, 31, v98
	s_delay_alu instid0(VALU_DEP_1)
	v_lshrrev_b64 v[98:99], 3, v[98:99]
.LBB2_1087:                             ;   in Loop: Header=BB2_1069 Depth=2
	s_wait_xcnt 0x0
	s_or_b32 exec_lo, exec_lo, s44
	s_delay_alu instid0(SALU_CYCLE_1)
	s_or_not1_b32 s13, vcc_lo, exec_lo
.LBB2_1088:                             ;   in Loop: Header=BB2_1069 Depth=2
	s_or_b32 exec_lo, exec_lo, s41
	s_and_saveexec_b32 s41, s13
; %bb.1089:                             ;   in Loop: Header=BB2_1069 Depth=2
	v_mul_u64_e32 v[98:99], v[2:3], v[22:23]
; %bb.1090:                             ;   in Loop: Header=BB2_1069 Depth=2
	s_or_b32 exec_lo, exec_lo, s41
	v_and_b32_e32 v2, 0x2000, v30
	s_delay_alu instid0(VALU_DEP_2)
	v_lshl_add_u64 v[98:99], v[98:99], 3, v[24:25]
	s_mov_b32 s13, exec_lo
	ds_store_b64 v0, v[98:99] offset:720
	v_cmpx_ne_u32_e32 0, v2
	s_cbranch_execz .LBB2_1092
; %bb.1091:                             ;   in Loop: Header=BB2_1069 Depth=2
	ds_load_b64 v[98:99], v0 offset:872
	s_wait_dscnt 0x0
	v_add_nc_u64_e32 v[98:99], 1, v[98:99]
	ds_store_b64 v0, v[98:99] offset:872
.LBB2_1092:                             ;   in Loop: Header=BB2_1069 Depth=2
	s_or_b32 exec_lo, exec_lo, s13
	v_mov_b64_e32 v[98:99], v[100:101]
.LBB2_1093:                             ;   in Loop: Header=BB2_1069 Depth=2
	s_or_b32 exec_lo, exec_lo, s20
	s_and_saveexec_b32 s13, s2
	s_cbranch_execz .LBB2_1112
; %bb.1094:                             ;   in Loop: Header=BB2_1069 Depth=2
	s_and_saveexec_b32 s20, s3
	s_delay_alu instid0(SALU_CYCLE_1)
	s_xor_b32 s20, exec_lo, s20
	s_cbranch_execz .LBB2_1109
; %bb.1095:                             ;   in Loop: Header=BB2_1069 Depth=2
	s_and_saveexec_b32 s41, s6
	s_cbranch_execz .LBB2_1108
; %bb.1096:                             ;   in Loop: Header=BB2_1069 Depth=2
	s_mov_b32 s45, exec_lo
	s_mov_b32 s44, exec_lo
	v_mbcnt_lo_u32_b32 v2, s45, 0
	global_wb scope:SCOPE_DEV
	s_wait_storecnt 0x0
	s_wait_loadcnt_dscnt 0x0
	global_inv scope:SCOPE_DEV
	v_cmpx_eq_u32_e32 0, v2
	s_cbranch_execz .LBB2_1098
; %bb.1097:                             ;   in Loop: Header=BB2_1069 Depth=2
	s_bcnt1_i32_b32 s45, s45
	s_delay_alu instid0(SALU_CYCLE_1)
	v_mov_b32_e32 v2, s45
	s_wait_loadcnt 0x0
	ds_add_u64 v2, v[2:3]
	s_trap 2
.LBB2_1098:                             ;   in Loop: Header=BB2_1069 Depth=2
	s_or_b32 exec_lo, exec_lo, s44
	s_trap 2
	ds_load_b64 v[100:101], v2
	s_wait_dscnt 0x0
	v_add_nc_u64_e32 v[12:13], v[12:13], v[32:33]
	s_mov_b32 s44, exec_lo
	s_delay_alu instid0(VALU_DEP_1)
	v_cmpx_lt_u64_e64 v[100:101], v[12:13]
	s_cbranch_execz .LBB2_1107
; %bb.1099:                             ;   in Loop: Header=BB2_1069 Depth=2
	s_mov_b32 s45, 0
	s_mov_b32 s74, 0
                                        ; implicit-def: $sgpr46
                                        ; implicit-def: $sgpr47
	s_branch .LBB2_1101
.LBB2_1100:                             ;   in Loop: Header=BB2_1101 Depth=3
	s_or_b32 exec_lo, exec_lo, s76
	s_delay_alu instid0(SALU_CYCLE_1) | instskip(NEXT) | instid1(SALU_CYCLE_1)
	s_and_b32 s75, exec_lo, s77
	s_or_b32 s45, s75, s45
	s_and_not1_b32 s46, s46, exec_lo
	s_and_b32 s75, s47, exec_lo
	s_delay_alu instid0(SALU_CYCLE_1)
	s_or_b32 s46, s46, s75
	s_and_not1_b32 exec_lo, exec_lo, s45
	s_cbranch_execz .LBB2_1105
.LBB2_1101:                             ;   Parent Loop BB2_47 Depth=1
                                        ;     Parent Loop BB2_1069 Depth=2
                                        ; =>    This Inner Loop Header: Depth=3
	s_add_co_i32 s74, s74, 1
	s_delay_alu instid0(SALU_CYCLE_1) | instskip(SKIP_1) | instid1(SALU_CYCLE_1)
	s_cmp_lg_u32 s74, 0x2710
	s_cselect_b32 s75, -1, 0
	s_and_b32 vcc_lo, exec_lo, s75
	s_cbranch_vccz .LBB2_1103
; %bb.1102:                             ;   in Loop: Header=BB2_1101 Depth=3
	s_mov_b32 s77, -1
	s_or_b32 s47, s47, exec_lo
	s_and_saveexec_b32 s76, s75
	s_cbranch_execz .LBB2_1100
	s_branch .LBB2_1104
.LBB2_1103:                             ;   in Loop: Header=BB2_1101 Depth=3
	s_trap 2
	ds_load_b64 v[100:101], v2
	s_and_not1_b32 s75, s75, exec_lo
	s_mov_b32 s74, 0
	s_wait_loadcnt_dscnt 0x0
	flat_load_b32 v2, v[100:101] scope:SCOPE_SYS
	s_wait_loadcnt_dscnt 0x0
	global_inv scope:SCOPE_SYS
	v_cmp_eq_u32_e32 vcc_lo, 0, v2
	s_and_b32 s76, vcc_lo, exec_lo
	s_delay_alu instid0(SALU_CYCLE_1)
	s_or_b32 s75, s75, s76
	s_mov_b32 s77, -1
	s_or_b32 s47, s47, exec_lo
	s_and_saveexec_b32 s76, s75
	s_cbranch_execz .LBB2_1100
.LBB2_1104:                             ;   in Loop: Header=BB2_1101 Depth=3
	s_sleep 1
	s_trap 2
	ds_load_b64 v[100:101], v2
	s_wait_dscnt 0x0
	s_and_not1_b32 s47, s47, exec_lo
	v_cmp_ge_u64_e32 vcc_lo, v[100:101], v[12:13]
	s_or_not1_b32 s77, vcc_lo, exec_lo
	s_branch .LBB2_1100
.LBB2_1105:                             ;   in Loop: Header=BB2_1069 Depth=2
	s_or_b32 exec_lo, exec_lo, s45
	s_and_saveexec_b32 s45, s46
	s_delay_alu instid0(SALU_CYCLE_1)
	s_xor_b32 s45, exec_lo, s45
	s_cbranch_execz .LBB2_1107
; %bb.1106:                             ;   in Loop: Header=BB2_1069 Depth=2
	ds_store_b32 v2, v75
	s_trap 2
.LBB2_1107:                             ;   in Loop: Header=BB2_1069 Depth=2
	s_or_b32 exec_lo, exec_lo, s44
	;;#ASMSTART
	s_wakeup
	;;#ASMEND
.LBB2_1108:                             ;   in Loop: Header=BB2_1069 Depth=2
	s_or_b32 exec_lo, exec_lo, s41
.LBB2_1109:                             ;   in Loop: Header=BB2_1069 Depth=2
	s_and_not1_saveexec_b32 s20, s20
	s_cbranch_execz .LBB2_1111
; %bb.1110:                             ;   in Loop: Header=BB2_1069 Depth=2
	global_wb scope:SCOPE_DEV
	s_wait_storecnt 0x0
	s_wait_loadcnt_dscnt 0x0
	global_inv scope:SCOPE_DEV
	s_barrier_signal -1
	s_barrier_wait -1
.LBB2_1111:                             ;   in Loop: Header=BB2_1069 Depth=2
	s_or_b32 exec_lo, exec_lo, s20
.LBB2_1112:                             ;   in Loop: Header=BB2_1069 Depth=2
	s_delay_alu instid0(SALU_CYCLE_1) | instskip(SKIP_4) | instid1(VALU_DEP_1)
	s_or_b32 exec_lo, exec_lo, s13
	s_trap 2
	ds_load_b32 v9, v2
	v_and_b32_e32 v2, 0x4000, v30
	s_xor_b32 s13, s1, -1
	v_cmp_ne_u32_e32 vcc_lo, 0, v2
	s_and_b32 s20, s13, vcc_lo
	s_delay_alu instid0(SALU_CYCLE_1)
	s_and_saveexec_b32 s13, s20
	s_cbranch_execz .LBB2_1131
; %bb.1113:                             ;   in Loop: Header=BB2_1069 Depth=2
	s_and_saveexec_b32 s20, s3
	s_delay_alu instid0(SALU_CYCLE_1)
	s_xor_b32 s20, exec_lo, s20
	s_cbranch_execz .LBB2_1128
; %bb.1114:                             ;   in Loop: Header=BB2_1069 Depth=2
	s_and_saveexec_b32 s41, s6
	s_cbranch_execz .LBB2_1127
; %bb.1115:                             ;   in Loop: Header=BB2_1069 Depth=2
	s_mov_b32 s45, exec_lo
	s_mov_b32 s44, exec_lo
	v_mbcnt_lo_u32_b32 v2, s45, 0
	global_wb scope:SCOPE_DEV
	s_wait_storecnt 0x0
	s_wait_loadcnt_dscnt 0x0
	global_inv scope:SCOPE_DEV
	v_cmpx_eq_u32_e32 0, v2
	s_cbranch_execz .LBB2_1117
; %bb.1116:                             ;   in Loop: Header=BB2_1069 Depth=2
	s_bcnt1_i32_b32 s45, s45
	s_delay_alu instid0(SALU_CYCLE_1)
	v_mov_b32_e32 v2, s45
	s_wait_loadcnt 0x0
	ds_add_u64 v2, v[2:3]
	s_trap 2
.LBB2_1117:                             ;   in Loop: Header=BB2_1069 Depth=2
	s_or_b32 exec_lo, exec_lo, s44
	s_trap 2
	ds_load_b64 v[100:101], v2
	s_wait_dscnt 0x0
	v_add_nc_u64_e32 v[12:13], v[12:13], v[32:33]
	s_mov_b32 s44, exec_lo
	s_delay_alu instid0(VALU_DEP_1)
	v_cmpx_lt_u64_e64 v[100:101], v[12:13]
	s_cbranch_execz .LBB2_1126
; %bb.1118:                             ;   in Loop: Header=BB2_1069 Depth=2
	s_mov_b32 s45, 0
	s_mov_b32 s74, 0
                                        ; implicit-def: $sgpr46
                                        ; implicit-def: $sgpr47
	s_branch .LBB2_1120
.LBB2_1119:                             ;   in Loop: Header=BB2_1120 Depth=3
	s_or_b32 exec_lo, exec_lo, s76
	s_delay_alu instid0(SALU_CYCLE_1) | instskip(NEXT) | instid1(SALU_CYCLE_1)
	s_and_b32 s75, exec_lo, s77
	s_or_b32 s45, s75, s45
	s_and_not1_b32 s46, s46, exec_lo
	s_and_b32 s75, s47, exec_lo
	s_delay_alu instid0(SALU_CYCLE_1)
	s_or_b32 s46, s46, s75
	s_and_not1_b32 exec_lo, exec_lo, s45
	s_cbranch_execz .LBB2_1124
.LBB2_1120:                             ;   Parent Loop BB2_47 Depth=1
                                        ;     Parent Loop BB2_1069 Depth=2
                                        ; =>    This Inner Loop Header: Depth=3
	s_add_co_i32 s74, s74, 1
	s_delay_alu instid0(SALU_CYCLE_1) | instskip(SKIP_1) | instid1(SALU_CYCLE_1)
	s_cmp_lg_u32 s74, 0x2710
	s_cselect_b32 s75, -1, 0
	s_and_b32 vcc_lo, exec_lo, s75
	s_cbranch_vccz .LBB2_1122
; %bb.1121:                             ;   in Loop: Header=BB2_1120 Depth=3
	s_mov_b32 s77, -1
	s_or_b32 s47, s47, exec_lo
	s_and_saveexec_b32 s76, s75
	s_cbranch_execz .LBB2_1119
	s_branch .LBB2_1123
.LBB2_1122:                             ;   in Loop: Header=BB2_1120 Depth=3
	s_trap 2
	ds_load_b64 v[100:101], v2
	s_and_not1_b32 s75, s75, exec_lo
	s_mov_b32 s74, 0
	s_wait_loadcnt_dscnt 0x0
	flat_load_b32 v2, v[100:101] scope:SCOPE_SYS
	s_wait_loadcnt_dscnt 0x0
	global_inv scope:SCOPE_SYS
	v_cmp_eq_u32_e32 vcc_lo, 0, v2
	s_and_b32 s76, vcc_lo, exec_lo
	s_delay_alu instid0(SALU_CYCLE_1)
	s_or_b32 s75, s75, s76
	s_mov_b32 s77, -1
	s_or_b32 s47, s47, exec_lo
	s_and_saveexec_b32 s76, s75
	s_cbranch_execz .LBB2_1119
.LBB2_1123:                             ;   in Loop: Header=BB2_1120 Depth=3
	s_sleep 1
	s_trap 2
	ds_load_b64 v[100:101], v2
	s_wait_dscnt 0x0
	s_and_not1_b32 s47, s47, exec_lo
	v_cmp_ge_u64_e32 vcc_lo, v[100:101], v[12:13]
	s_or_not1_b32 s77, vcc_lo, exec_lo
	s_branch .LBB2_1119
.LBB2_1124:                             ;   in Loop: Header=BB2_1069 Depth=2
	s_or_b32 exec_lo, exec_lo, s45
	s_and_saveexec_b32 s45, s46
	s_delay_alu instid0(SALU_CYCLE_1)
	s_xor_b32 s45, exec_lo, s45
	s_cbranch_execz .LBB2_1126
; %bb.1125:                             ;   in Loop: Header=BB2_1069 Depth=2
	ds_store_b32 v2, v75
	s_trap 2
.LBB2_1126:                             ;   in Loop: Header=BB2_1069 Depth=2
	s_or_b32 exec_lo, exec_lo, s44
	;;#ASMSTART
	s_wakeup
	;;#ASMEND
.LBB2_1127:                             ;   in Loop: Header=BB2_1069 Depth=2
	s_or_b32 exec_lo, exec_lo, s41
.LBB2_1128:                             ;   in Loop: Header=BB2_1069 Depth=2
	s_and_not1_saveexec_b32 s20, s20
	s_cbranch_execz .LBB2_1130
; %bb.1129:                             ;   in Loop: Header=BB2_1069 Depth=2
	global_wb scope:SCOPE_DEV
	s_wait_storecnt 0x0
	s_wait_loadcnt_dscnt 0x0
	global_inv scope:SCOPE_DEV
	s_barrier_signal -1
	s_barrier_wait -1
.LBB2_1130:                             ;   in Loop: Header=BB2_1069 Depth=2
	s_or_b32 exec_lo, exec_lo, s20
.LBB2_1131:                             ;   in Loop: Header=BB2_1069 Depth=2
	s_delay_alu instid0(SALU_CYCLE_1) | instskip(SKIP_3) | instid1(VALU_DEP_1)
	s_or_b32 exec_lo, exec_lo, s13
	s_trap 2
	ds_load_b64 v[100:101], v2
	v_sub_nc_u32_e32 v2, v114, v8
	v_min_i32_e32 v115, v115, v2
	s_wait_dscnt 0x0
	v_cmp_eq_u64_e32 vcc_lo, 0, v[100:101]
	s_cbranch_vccnz .LBB2_1139
; %bb.1132:                             ;   in Loop: Header=BB2_1069 Depth=2
	s_trap 2
	ds_load_b64 v[102:103], v2
	s_wait_dscnt 0x0
	v_cmp_eq_u64_e32 vcc_lo, 0, v[102:103]
	s_cbranch_vccnz .LBB2_1139
; %bb.1133:                             ;   in Loop: Header=BB2_1069 Depth=2
	s_mov_b32 s13, -1
	s_and_saveexec_b32 s20, s10
	s_cbranch_execz .LBB2_1135
; %bb.1134:                             ;   in Loop: Header=BB2_1069 Depth=2
	ds_load_b32 v2, v0 offset:720
	s_wait_dscnt 0x0
	v_and_b32_e32 v2, 15, v2
	s_delay_alu instid0(VALU_DEP_1)
	v_cmp_eq_u32_e32 vcc_lo, 0, v2
	s_or_not1_b32 s13, vcc_lo, exec_lo
.LBB2_1135:                             ;   in Loop: Header=BB2_1069 Depth=2
	s_or_b32 exec_lo, exec_lo, s20
	s_and_saveexec_b32 s20, s7
	s_cbranch_execz .LBB2_1137
; %bb.1136:                             ;   in Loop: Header=BB2_1069 Depth=2
	ds_load_b32 v2, v0 offset:784
	s_wait_dscnt 0x0
	v_and_b32_e32 v2, 15, v2
	s_delay_alu instid0(VALU_DEP_1) | instskip(SKIP_3) | instid1(SALU_CYCLE_1)
	v_cmp_eq_u32_e32 vcc_lo, 0, v2
	s_and_b32 s41, s13, vcc_lo
	s_and_not1_b32 s13, s13, exec_lo
	s_and_b32 s41, s41, exec_lo
	s_or_b32 s13, s13, s41
.LBB2_1137:                             ;   in Loop: Header=BB2_1069 Depth=2
	s_or_b32 exec_lo, exec_lo, s20
	v_cmp_eq_u32_e32 vcc_lo, 0, v9
	s_xor_b32 s13, s13, -1
	v_mov_b32_e32 v116, 0
	v_cndmask_b32_e64 v112, 0, 1, s13
	s_mov_b32 s13, -1
	v_cndmask_b32_e32 v2, 0, v115, vcc_lo
	s_delay_alu instid0(VALU_DEP_2) | instskip(NEXT) | instid1(VALU_DEP_2)
	v_cmp_ne_u32_e32 vcc_lo, 0, v112
	v_lshlrev_b32_e32 v9, 3, v2
	s_cbranch_vccz .LBB2_1144
; %bb.1138:                             ;   in Loop: Header=BB2_1069 Depth=2
	v_dual_mov_b32 v112, v0 :: v_dual_mov_b32 v117, v73
	s_and_saveexec_b32 s20, s13
	s_cbranch_execnz .LBB2_1157
	s_branch .LBB2_1165
.LBB2_1139:                             ;   in Loop: Header=BB2_1069 Depth=2
	s_mov_b32 s13, 0
	s_and_saveexec_b32 s20, s2
	s_cbranch_execnz .LBB2_1166
.LBB2_1140:                             ;   in Loop: Header=BB2_1069 Depth=2
	s_or_b32 exec_lo, exec_lo, s20
	s_and_saveexec_b32 s20, s12
	s_delay_alu instid0(SALU_CYCLE_1)
	s_xor_b32 s20, exec_lo, s20
	s_cbranch_execz .LBB2_1184
.LBB2_1141:                             ;   in Loop: Header=BB2_1069 Depth=2
	v_and_b32_e32 v2, 16, v30
	s_delay_alu instid0(VALU_DEP_1) | instskip(SKIP_1) | instid1(SALU_CYCLE_1)
	v_cmp_ne_u32_e32 vcc_lo, 0, v2
	s_and_b32 s41, vcc_lo, s13
	s_and_saveexec_b32 s13, s41
	s_cbranch_execz .LBB2_1143
; %bb.1142:                             ;   in Loop: Header=BB2_1069 Depth=2
	global_wb scope:SCOPE_SYS
	s_wait_storecnt 0x0
	s_wait_loadcnt_dscnt 0x0
	global_inv scope:SCOPE_SYS
.LBB2_1143:                             ;   in Loop: Header=BB2_1069 Depth=2
	s_or_b32 exec_lo, exec_lo, s13
	s_and_not1_saveexec_b32 s13, s20
	s_cbranch_execz .LBB2_1203
	s_branch .LBB2_1185
.LBB2_1144:                             ;   in Loop: Header=BB2_1069 Depth=2
	s_delay_alu instid0(VALU_DEP_1) | instskip(SKIP_1) | instid1(VALU_DEP_1)
	v_ashrrev_i32_e32 v112, 31, v9
	s_mov_b32 s13, exec_lo
	v_lshrrev_b32_e32 v112, 22, v112
	s_delay_alu instid0(VALU_DEP_1) | instskip(NEXT) | instid1(VALU_DEP_1)
	v_add_nc_u32_e32 v112, v9, v112
	v_ashrrev_i32_e32 v116, 10, v112
	s_delay_alu instid0(VALU_DEP_1) | instskip(NEXT) | instid1(VALU_DEP_1)
	v_sub_nc_u32_e32 v119, v116, v74
	v_cmpx_lt_i32_e32 0, v119
	s_cbranch_execz .LBB2_1148
; %bb.1145:                             ;   in Loop: Header=BB2_1069 Depth=2
	v_mov_b64_e32 v[112:113], v[66:67]
	s_mov_b32 s20, 0
.LBB2_1146:                             ;   Parent Loop BB2_47 Depth=1
                                        ;     Parent Loop BB2_1069 Depth=2
                                        ; =>    This Inner Loop Header: Depth=3
	s_delay_alu instid0(VALU_DEP_1)
	v_add_nc_u64_e32 v[44:45], v[100:101], v[112:113]
	v_sub_nc_u32_e32 v119, v119, v32
	v_add_nc_u64_e32 v[56:57], v[102:103], v[112:113]
	v_add_nc_u64_e32 v[112:113], v[112:113], v[50:51]
	s_clause 0x1
	global_load_b128 v[40:43], v[44:45], off th:TH_LOAD_NT
	global_load_b128 v[44:47], v[44:45], off offset:512 th:TH_LOAD_NT
	v_cmp_gt_i32_e32 vcc_lo, 1, v119
	s_wait_loadcnt 0x1
	global_store_b128 v[56:57], v[40:43], off th:TH_STORE_NT
	s_wait_loadcnt 0x0
	global_store_b128 v[56:57], v[44:47], off offset:512 th:TH_STORE_NT
	s_or_b32 s20, vcc_lo, s20
	s_wait_xcnt 0x0
	s_and_not1_b32 exec_lo, exec_lo, s20
	s_cbranch_execnz .LBB2_1146
; %bb.1147:                             ;   in Loop: Header=BB2_1069 Depth=2
	s_or_b32 exec_lo, exec_lo, s20
.LBB2_1148:                             ;   in Loop: Header=BB2_1069 Depth=2
	s_delay_alu instid0(SALU_CYCLE_1) | instskip(SKIP_3) | instid1(VALU_DEP_1)
	s_or_b32 exec_lo, exec_lo, s13
	v_dual_lshlrev_b32 v118, 10, v116 :: v_dual_mov_b32 v116, 0
	s_mov_b32 s13, 0
	s_mov_b32 s20, exec_lo
                                        ; implicit-def: $vgpr112
                                        ; implicit-def: $vgpr117
	v_cmpx_ne_u32_e64 v9, v118
	s_cbranch_execz .LBB2_1156
; %bb.1149:                             ;   in Loop: Header=BB2_1069 Depth=2
	v_dual_lshlrev_b32 v112, 5, v119 :: v_dual_sub_nc_u32 v116, v9, v118
	s_mov_b32 s41, exec_lo
	s_delay_alu instid0(VALU_DEP_1) | instskip(NEXT) | instid1(VALU_DEP_2)
	v_sub_nc_u32_e32 v112, v73, v112
	v_ashrrev_i32_e32 v117, 31, v116
	s_delay_alu instid0(VALU_DEP_1) | instskip(NEXT) | instid1(VALU_DEP_1)
	v_dual_ashrrev_i32 v113, 31, v112 :: v_dual_lshrrev_b32 v117, 23, v117
	v_lshrrev_b32_e32 v113, 27, v113
	s_delay_alu instid0(VALU_DEP_1) | instskip(NEXT) | instid1(VALU_DEP_1)
	v_add_nc_u32_e32 v113, v112, v113
	v_and_b32_e32 v119, 0xffffffe0, v113
	s_delay_alu instid0(VALU_DEP_1) | instskip(NEXT) | instid1(VALU_DEP_1)
	v_dual_ashrrev_i32 v113, 5, v113 :: v_dual_sub_nc_u32 v40, v112, v119
	v_dual_add_nc_u32 v117, v116, v117 :: v_dual_lshlrev_b32 v112, 4, v40
	s_delay_alu instid0(VALU_DEP_1) | instskip(SKIP_1) | instid1(VALU_DEP_3)
	v_and_b32_e32 v119, 0xfffffe00, v117
	v_ashrrev_i32_e32 v117, 9, v117
	v_lshl_add_u32 v112, v113, 9, v112
	s_delay_alu instid0(VALU_DEP_3) | instskip(NEXT) | instid1(VALU_DEP_1)
	v_sub_nc_u32_e32 v41, v116, v119
	v_cmp_lt_i32_e32 vcc_lo, 15, v41
	s_delay_alu instid0(VALU_DEP_4) | instskip(NEXT) | instid1(VALU_DEP_1)
	v_add_co_ci_u32_e64 v117, null, 0, v117, vcc_lo
	v_dual_sub_nc_u32 v116, v116, v112 :: v_dual_sub_nc_u32 v42, v117, v113
	s_delay_alu instid0(VALU_DEP_1)
	v_cmpx_lt_i32_e32 15, v116
	s_cbranch_execz .LBB2_1153
; %bb.1150:                             ;   in Loop: Header=BB2_1069 Depth=2
	v_add_nc_u32_e32 v112, v112, v118
	s_mov_b32 s44, 0
	s_delay_alu instid0(VALU_DEP_1)
	v_ashrrev_i32_e32 v113, 31, v112
.LBB2_1151:                             ;   Parent Loop BB2_47 Depth=1
                                        ;     Parent Loop BB2_1069 Depth=2
                                        ; =>    This Inner Loop Header: Depth=3
	s_delay_alu instid0(VALU_DEP_1) | instskip(SKIP_4) | instid1(VALU_DEP_4)
	v_add_nc_u64_e32 v[44:45], v[100:101], v[112:113]
	v_sub_nc_u32_e32 v116, v116, v52
	v_add_nc_u64_e32 v[56:57], v[102:103], v[112:113]
	v_add_nc_u64_e32 v[112:113], v[112:113], v[52:53]
	v_sub_nc_u32_e32 v42, v42, v32
	v_cmp_gt_i32_e64 s13, 16, v116
	global_load_b128 v[44:47], v[44:45], off th:TH_LOAD_NT
	s_or_b32 s44, s13, s44
	s_wait_loadcnt 0x0
	global_store_b128 v[56:57], v[44:47], off th:TH_STORE_NT
	s_wait_xcnt 0x0
	s_and_not1_b32 exec_lo, exec_lo, s44
	s_cbranch_execnz .LBB2_1151
; %bb.1152:                             ;   in Loop: Header=BB2_1069 Depth=2
	s_or_b32 exec_lo, exec_lo, s44
.LBB2_1153:                             ;   in Loop: Header=BB2_1069 Depth=2
	s_delay_alu instid0(SALU_CYCLE_1) | instskip(SKIP_3) | instid1(VALU_DEP_1)
	s_or_b32 exec_lo, exec_lo, s41
	v_dual_mov_b32 v116, 0 :: v_dual_bitop2_b32 v113, 8, v9 bitop3:0x40
	s_mov_b32 s41, 0
	s_mov_b32 s44, exec_lo
                                        ; implicit-def: $vgpr112
                                        ; implicit-def: $vgpr117
	v_cndmask_b32_e32 v9, v41, v113, vcc_lo
	s_delay_alu instid0(VALU_DEP_1)
	v_cmpx_ne_u32_e32 0, v9
	s_cbranch_execz .LBB2_1155
; %bb.1154:                             ;   in Loop: Header=BB2_1069 Depth=2
	v_cmp_lt_i32_e64 s13, 0, v42
	s_mov_b32 s41, exec_lo
	v_dual_sub_nc_u32 v113, v41, v113 :: v_dual_cndmask_b32 v112, 0, v32, s13
	s_delay_alu instid0(VALU_DEP_1) | instskip(NEXT) | instid1(VALU_DEP_1)
	v_dual_cndmask_b32 v113, 0, v113 :: v_dual_sub_nc_u32 v112, v112, v42
	v_lshl_add_u32 v112, v112, 5, v40
	s_delay_alu instid0(VALU_DEP_1) | instskip(NEXT) | instid1(VALU_DEP_1)
	v_ashrrev_i32_e32 v116, 31, v112
	v_lshrrev_b32_e32 v116, 27, v116
	s_delay_alu instid0(VALU_DEP_1) | instskip(NEXT) | instid1(VALU_DEP_1)
	v_add_nc_u32_e32 v116, v112, v116
	v_and_b32_e32 v117, 0xffffffe0, v116
	v_add3_u32 v116, v119, v118, v113
	s_delay_alu instid0(VALU_DEP_2)
	v_sub_nc_u32_e32 v117, v112, v117
.LBB2_1155:                             ;   in Loop: Header=BB2_1069 Depth=2
	s_or_b32 exec_lo, exec_lo, s44
	s_delay_alu instid0(SALU_CYCLE_1)
	s_and_b32 s13, s41, exec_lo
.LBB2_1156:                             ;   in Loop: Header=BB2_1069 Depth=2
	s_or_b32 exec_lo, exec_lo, s20
	s_and_saveexec_b32 s20, s13
	s_cbranch_execz .LBB2_1165
.LBB2_1157:                             ;   in Loop: Header=BB2_1069 Depth=2
	s_delay_alu instid0(VALU_DEP_1) | instskip(SKIP_1) | instid1(VALU_DEP_1)
	v_dual_ashrrev_i32 v113, 31, v112 :: v_dual_ashrrev_i32 v118, 31, v9
	s_mov_b32 s41, exec_lo
	v_dual_lshrrev_b32 v113, 27, v113 :: v_dual_lshrrev_b32 v118, 24, v118
	s_delay_alu instid0(VALU_DEP_1) | instskip(NEXT) | instid1(VALU_DEP_1)
	v_dual_add_nc_u32 v112, v112, v113 :: v_dual_add_nc_u32 v113, v9, v118
	v_dual_ashrrev_i32 v40, 5, v112 :: v_dual_lshlrev_b32 v112, 3, v117
	s_delay_alu instid0(VALU_DEP_2) | instskip(SKIP_1) | instid1(VALU_DEP_3)
	v_and_b32_e32 v118, 0xffffff00, v113
	v_ashrrev_i32_e32 v113, 8, v113
	v_lshl_add_u32 v112, v40, 8, v112
	s_delay_alu instid0(VALU_DEP_3) | instskip(NEXT) | instid1(VALU_DEP_3)
	v_sub_nc_u32_e32 v119, v9, v118
	v_sub_nc_u32_e32 v113, v113, v40
	s_delay_alu instid0(VALU_DEP_3) | instskip(NEXT) | instid1(VALU_DEP_3)
	v_sub_nc_u32_e32 v41, v9, v112
	v_cmp_lt_i32_e32 vcc_lo, 7, v119
	s_delay_alu instid0(VALU_DEP_3) | instskip(NEXT) | instid1(VALU_DEP_3)
	v_add_co_ci_u32_e64 v40, null, 0, v113, vcc_lo
	v_cmpx_lt_i32_e32 7, v41
	s_cbranch_execz .LBB2_1161
; %bb.1158:                             ;   in Loop: Header=BB2_1069 Depth=2
	v_add_nc_u32_e32 v112, v112, v116
	s_mov_b32 s44, 0
	s_delay_alu instid0(VALU_DEP_1)
	v_ashrrev_i32_e32 v113, 31, v112
.LBB2_1159:                             ;   Parent Loop BB2_47 Depth=1
                                        ;     Parent Loop BB2_1069 Depth=2
                                        ; =>    This Inner Loop Header: Depth=3
	s_delay_alu instid0(VALU_DEP_1) | instskip(SKIP_3) | instid1(VALU_DEP_3)
	v_add_nc_u64_e32 v[42:43], v[100:101], v[112:113]
	v_dual_sub_nc_u32 v41, v41, v54 :: v_dual_sub_nc_u32 v40, v40, v32
	v_add_nc_u64_e32 v[44:45], v[102:103], v[112:113]
	v_add_nc_u64_e32 v[112:113], v[112:113], v[54:55]
	v_cmp_gt_i32_e64 s13, 8, v41
	flat_load_b64 v[42:43], v[42:43] th:TH_LOAD_NT
	s_or_b32 s44, s13, s44
	s_wait_loadcnt_dscnt 0x0
	flat_store_b64 v[44:45], v[42:43] th:TH_STORE_NT
	s_wait_xcnt 0x0
	s_and_not1_b32 exec_lo, exec_lo, s44
	s_cbranch_execnz .LBB2_1159
; %bb.1160:                             ;   in Loop: Header=BB2_1069 Depth=2
	s_or_b32 exec_lo, exec_lo, s44
.LBB2_1161:                             ;   in Loop: Header=BB2_1069 Depth=2
	s_delay_alu instid0(SALU_CYCLE_1) | instskip(SKIP_1) | instid1(VALU_DEP_1)
	s_or_b32 exec_lo, exec_lo, s41
	v_and_b32_e32 v112, 7, v9
	v_cndmask_b32_e32 v9, v119, v112, vcc_lo
	s_delay_alu instid0(VALU_DEP_1)
	v_cmp_ne_u32_e64 s13, 0, v9
	s_and_b32 exec_lo, exec_lo, s13
	s_cbranch_execz .LBB2_1165
; %bb.1162:                             ;   in Loop: Header=BB2_1069 Depth=2
	v_cmp_lt_i32_e64 s13, 0, v40
	s_delay_alu instid0(VALU_DEP_1) | instskip(NEXT) | instid1(VALU_DEP_1)
	v_cndmask_b32_e64 v113, 0, v32, s13
	v_sub_nc_u32_e32 v113, v113, v40
	s_delay_alu instid0(VALU_DEP_1) | instskip(NEXT) | instid1(VALU_DEP_1)
	v_lshl_add_u32 v113, v113, 5, v117
	v_ashrrev_i32_e32 v117, 31, v113
	s_delay_alu instid0(VALU_DEP_1) | instskip(NEXT) | instid1(VALU_DEP_1)
	v_lshrrev_b32_e32 v117, 27, v117
	v_add_nc_u32_e32 v117, v113, v117
	s_delay_alu instid0(VALU_DEP_1) | instskip(NEXT) | instid1(VALU_DEP_1)
	v_and_b32_e32 v40, 0x1fffffe0, v117
	v_dual_lshlrev_b32 v117, 3, v117 :: v_dual_sub_nc_u32 v113, v113, v40
	s_delay_alu instid0(VALU_DEP_1) | instskip(NEXT) | instid1(VALU_DEP_1)
	v_and_b32_e32 v117, 0xffffff00, v117
	v_lshl_add_u32 v113, v113, 3, v117
	s_delay_alu instid0(VALU_DEP_1) | instskip(NEXT) | instid1(VALU_DEP_1)
	v_sub_nc_u32_e32 v9, v9, v113
	v_cmp_lt_i32_e64 s13, 7, v9
	s_and_b32 exec_lo, exec_lo, s13
	s_cbranch_execz .LBB2_1165
; %bb.1163:                             ;   in Loop: Header=BB2_1069 Depth=2
	v_sub_nc_u32_e32 v112, v119, v112
	v_add_nc_u32_e32 v116, v118, v116
	s_mov_b32 s13, 0
	s_delay_alu instid0(VALU_DEP_2) | instskip(NEXT) | instid1(VALU_DEP_1)
	v_cndmask_b32_e32 v112, 0, v112, vcc_lo
	v_add3_u32 v112, v116, v112, v113
	s_delay_alu instid0(VALU_DEP_1)
	v_ashrrev_i32_e32 v113, 31, v112
.LBB2_1164:                             ;   Parent Loop BB2_47 Depth=1
                                        ;     Parent Loop BB2_1069 Depth=2
                                        ; =>    This Inner Loop Header: Depth=3
	s_delay_alu instid0(VALU_DEP_1) | instskip(SKIP_3) | instid1(VALU_DEP_3)
	v_add_nc_u64_e32 v[116:117], v[100:101], v[112:113]
	v_sub_nc_u32_e32 v9, v9, v64
	v_add_nc_u64_e32 v[118:119], v[102:103], v[112:113]
	v_add_nc_u64_e32 v[112:113], v[112:113], v[54:55]
	v_cmp_gt_i32_e32 vcc_lo, 8, v9
	flat_load_b64 v[116:117], v[116:117] th:TH_LOAD_NT
	s_or_b32 s13, vcc_lo, s13
	s_wait_loadcnt_dscnt 0x0
	flat_store_b64 v[118:119], v[116:117] th:TH_STORE_NT
	s_wait_xcnt 0x0
	s_and_not1_b32 exec_lo, exec_lo, s13
	s_cbranch_execnz .LBB2_1164
.LBB2_1165:                             ;   in Loop: Header=BB2_1069 Depth=2
	s_or_b32 exec_lo, exec_lo, s20
	v_cmp_lt_i32_e64 s13, 0, v2
	s_and_saveexec_b32 s20, s2
	s_cbranch_execz .LBB2_1140
.LBB2_1166:                             ;   in Loop: Header=BB2_1069 Depth=2
	s_and_saveexec_b32 s41, s3
	s_delay_alu instid0(SALU_CYCLE_1)
	s_xor_b32 s41, exec_lo, s41
	s_cbranch_execz .LBB2_1181
; %bb.1167:                             ;   in Loop: Header=BB2_1069 Depth=2
	s_and_saveexec_b32 s44, s6
	s_cbranch_execz .LBB2_1180
; %bb.1168:                             ;   in Loop: Header=BB2_1069 Depth=2
	s_mov_b32 s46, exec_lo
	s_mov_b32 s45, exec_lo
	v_mbcnt_lo_u32_b32 v2, s46, 0
	global_wb scope:SCOPE_DEV
	s_wait_storecnt 0x0
	s_wait_loadcnt_dscnt 0x0
	global_inv scope:SCOPE_DEV
	v_cmpx_eq_u32_e32 0, v2
	s_cbranch_execz .LBB2_1170
; %bb.1169:                             ;   in Loop: Header=BB2_1069 Depth=2
	s_bcnt1_i32_b32 s46, s46
	s_delay_alu instid0(SALU_CYCLE_1)
	v_mov_b32_e32 v2, s46
	s_wait_loadcnt 0x0
	ds_add_u64 v2, v[2:3]
	s_trap 2
.LBB2_1170:                             ;   in Loop: Header=BB2_1069 Depth=2
	s_or_b32 exec_lo, exec_lo, s45
	s_trap 2
	ds_load_b64 v[100:101], v2
	s_wait_dscnt 0x0
	v_add_nc_u64_e32 v[12:13], v[12:13], v[32:33]
	s_mov_b32 s45, exec_lo
	s_delay_alu instid0(VALU_DEP_1)
	v_cmpx_lt_u64_e64 v[100:101], v[12:13]
	s_cbranch_execz .LBB2_1179
; %bb.1171:                             ;   in Loop: Header=BB2_1069 Depth=2
	s_mov_b32 s46, 0
	s_mov_b32 s75, 0
                                        ; implicit-def: $sgpr47
                                        ; implicit-def: $sgpr74
	s_branch .LBB2_1173
.LBB2_1172:                             ;   in Loop: Header=BB2_1173 Depth=3
	s_or_b32 exec_lo, exec_lo, s77
	s_delay_alu instid0(SALU_CYCLE_1) | instskip(NEXT) | instid1(SALU_CYCLE_1)
	s_and_b32 s76, exec_lo, s78
	s_or_b32 s46, s76, s46
	s_and_not1_b32 s47, s47, exec_lo
	s_and_b32 s76, s74, exec_lo
	s_delay_alu instid0(SALU_CYCLE_1)
	s_or_b32 s47, s47, s76
	s_and_not1_b32 exec_lo, exec_lo, s46
	s_cbranch_execz .LBB2_1177
.LBB2_1173:                             ;   Parent Loop BB2_47 Depth=1
                                        ;     Parent Loop BB2_1069 Depth=2
                                        ; =>    This Inner Loop Header: Depth=3
	s_add_co_i32 s75, s75, 1
	s_delay_alu instid0(SALU_CYCLE_1) | instskip(SKIP_1) | instid1(SALU_CYCLE_1)
	s_cmp_lg_u32 s75, 0x2710
	s_cselect_b32 s76, -1, 0
	s_and_b32 vcc_lo, exec_lo, s76
	s_cbranch_vccz .LBB2_1175
; %bb.1174:                             ;   in Loop: Header=BB2_1173 Depth=3
	s_mov_b32 s78, -1
	s_or_b32 s74, s74, exec_lo
	s_and_saveexec_b32 s77, s76
	s_cbranch_execz .LBB2_1172
	s_branch .LBB2_1176
.LBB2_1175:                             ;   in Loop: Header=BB2_1173 Depth=3
	s_trap 2
	ds_load_b64 v[100:101], v2
	s_and_not1_b32 s76, s76, exec_lo
	s_mov_b32 s75, 0
	s_wait_loadcnt_dscnt 0x0
	flat_load_b32 v2, v[100:101] scope:SCOPE_SYS
	s_wait_loadcnt_dscnt 0x0
	global_inv scope:SCOPE_SYS
	v_cmp_eq_u32_e32 vcc_lo, 0, v2
	s_and_b32 s77, vcc_lo, exec_lo
	s_delay_alu instid0(SALU_CYCLE_1)
	s_or_b32 s76, s76, s77
	s_mov_b32 s78, -1
	s_or_b32 s74, s74, exec_lo
	s_and_saveexec_b32 s77, s76
	s_cbranch_execz .LBB2_1172
.LBB2_1176:                             ;   in Loop: Header=BB2_1173 Depth=3
	s_sleep 1
	s_trap 2
	ds_load_b64 v[100:101], v2
	s_wait_dscnt 0x0
	s_and_not1_b32 s74, s74, exec_lo
	v_cmp_ge_u64_e32 vcc_lo, v[100:101], v[12:13]
	s_or_not1_b32 s78, vcc_lo, exec_lo
	s_branch .LBB2_1172
.LBB2_1177:                             ;   in Loop: Header=BB2_1069 Depth=2
	s_or_b32 exec_lo, exec_lo, s46
	s_and_saveexec_b32 s46, s47
	s_delay_alu instid0(SALU_CYCLE_1)
	s_xor_b32 s46, exec_lo, s46
	s_cbranch_execz .LBB2_1179
; %bb.1178:                             ;   in Loop: Header=BB2_1069 Depth=2
	ds_store_b32 v2, v75
	s_trap 2
.LBB2_1179:                             ;   in Loop: Header=BB2_1069 Depth=2
	s_or_b32 exec_lo, exec_lo, s45
	;;#ASMSTART
	s_wakeup
	;;#ASMEND
.LBB2_1180:                             ;   in Loop: Header=BB2_1069 Depth=2
	s_or_b32 exec_lo, exec_lo, s44
.LBB2_1181:                             ;   in Loop: Header=BB2_1069 Depth=2
	s_and_not1_saveexec_b32 s41, s41
	s_cbranch_execz .LBB2_1183
; %bb.1182:                             ;   in Loop: Header=BB2_1069 Depth=2
	global_wb scope:SCOPE_DEV
	s_wait_storecnt 0x0
	s_wait_loadcnt_dscnt 0x0
	global_inv scope:SCOPE_DEV
	s_barrier_signal -1
	s_barrier_wait -1
.LBB2_1183:                             ;   in Loop: Header=BB2_1069 Depth=2
	s_or_b32 exec_lo, exec_lo, s41
	s_delay_alu instid0(SALU_CYCLE_1) | instskip(SKIP_1) | instid1(SALU_CYCLE_1)
	s_or_b32 exec_lo, exec_lo, s20
	s_and_saveexec_b32 s20, s12
	s_xor_b32 s20, exec_lo, s20
	s_cbranch_execnz .LBB2_1141
.LBB2_1184:                             ;   in Loop: Header=BB2_1069 Depth=2
	s_and_not1_saveexec_b32 s13, s20
	s_cbranch_execz .LBB2_1203
.LBB2_1185:                             ;   in Loop: Header=BB2_1069 Depth=2
	s_and_saveexec_b32 s20, s3
	s_delay_alu instid0(SALU_CYCLE_1)
	s_xor_b32 s20, exec_lo, s20
	s_cbranch_execz .LBB2_1200
; %bb.1186:                             ;   in Loop: Header=BB2_1069 Depth=2
	s_and_saveexec_b32 s41, s6
	s_cbranch_execz .LBB2_1199
; %bb.1187:                             ;   in Loop: Header=BB2_1069 Depth=2
	s_mov_b32 s45, exec_lo
	s_mov_b32 s44, exec_lo
	v_mbcnt_lo_u32_b32 v2, s45, 0
	;;#ASMSTART
	s_waitcnt lgkmcnt(0) vmcnt(0)
	;;#ASMEND
	s_delay_alu instid0(VALU_DEP_1)
	v_cmpx_eq_u32_e32 0, v2
	s_cbranch_execz .LBB2_1189
; %bb.1188:                             ;   in Loop: Header=BB2_1069 Depth=2
	s_bcnt1_i32_b32 s45, s45
	s_delay_alu instid0(SALU_CYCLE_1)
	v_mov_b32_e32 v2, s45
	s_wait_storecnt 0x0
	s_wait_loadcnt_dscnt 0x0
	ds_add_u64 v2, v[2:3]
	s_trap 2
.LBB2_1189:                             ;   in Loop: Header=BB2_1069 Depth=2
	s_or_b32 exec_lo, exec_lo, s44
	s_trap 2
	ds_load_b64 v[100:101], v2
	s_wait_dscnt 0x0
	v_add_nc_u64_e32 v[12:13], v[12:13], v[32:33]
	s_mov_b32 s44, exec_lo
	s_delay_alu instid0(VALU_DEP_1)
	v_cmpx_lt_u64_e64 v[100:101], v[12:13]
	s_cbranch_execz .LBB2_1198
; %bb.1190:                             ;   in Loop: Header=BB2_1069 Depth=2
	s_mov_b32 s45, 0
	s_mov_b32 s74, 0
                                        ; implicit-def: $sgpr46
                                        ; implicit-def: $sgpr47
	s_branch .LBB2_1192
.LBB2_1191:                             ;   in Loop: Header=BB2_1192 Depth=3
	s_or_b32 exec_lo, exec_lo, s76
	s_delay_alu instid0(SALU_CYCLE_1) | instskip(NEXT) | instid1(SALU_CYCLE_1)
	s_and_b32 s75, exec_lo, s77
	s_or_b32 s45, s75, s45
	s_and_not1_b32 s46, s46, exec_lo
	s_and_b32 s75, s47, exec_lo
	s_delay_alu instid0(SALU_CYCLE_1)
	s_or_b32 s46, s46, s75
	s_and_not1_b32 exec_lo, exec_lo, s45
	s_cbranch_execz .LBB2_1196
.LBB2_1192:                             ;   Parent Loop BB2_47 Depth=1
                                        ;     Parent Loop BB2_1069 Depth=2
                                        ; =>    This Inner Loop Header: Depth=3
	s_add_co_i32 s74, s74, 1
	s_delay_alu instid0(SALU_CYCLE_1) | instskip(SKIP_1) | instid1(SALU_CYCLE_1)
	s_cmp_lg_u32 s74, 0x2710
	s_cselect_b32 s75, -1, 0
	s_and_b32 vcc_lo, exec_lo, s75
	s_cbranch_vccz .LBB2_1194
; %bb.1193:                             ;   in Loop: Header=BB2_1192 Depth=3
	s_mov_b32 s77, -1
	s_or_b32 s47, s47, exec_lo
	s_and_saveexec_b32 s76, s75
	s_cbranch_execz .LBB2_1191
	s_branch .LBB2_1195
.LBB2_1194:                             ;   in Loop: Header=BB2_1192 Depth=3
	s_trap 2
	ds_load_b64 v[100:101], v2
	s_and_not1_b32 s75, s75, exec_lo
	s_mov_b32 s74, 0
	s_wait_storecnt 0x0
	s_wait_loadcnt_dscnt 0x0
	flat_load_b32 v2, v[100:101] scope:SCOPE_SYS
	s_wait_loadcnt_dscnt 0x0
	global_inv scope:SCOPE_SYS
	v_cmp_eq_u32_e32 vcc_lo, 0, v2
	s_and_b32 s76, vcc_lo, exec_lo
	s_delay_alu instid0(SALU_CYCLE_1)
	s_or_b32 s75, s75, s76
	s_mov_b32 s77, -1
	s_or_b32 s47, s47, exec_lo
	s_and_saveexec_b32 s76, s75
	s_cbranch_execz .LBB2_1191
.LBB2_1195:                             ;   in Loop: Header=BB2_1192 Depth=3
	s_sleep 1
	s_trap 2
	ds_load_b64 v[100:101], v2
	s_wait_dscnt 0x0
	s_and_not1_b32 s47, s47, exec_lo
	v_cmp_ge_u64_e32 vcc_lo, v[100:101], v[12:13]
	s_or_not1_b32 s77, vcc_lo, exec_lo
	s_branch .LBB2_1191
.LBB2_1196:                             ;   in Loop: Header=BB2_1069 Depth=2
	s_or_b32 exec_lo, exec_lo, s45
	s_and_saveexec_b32 s45, s46
	s_delay_alu instid0(SALU_CYCLE_1)
	s_xor_b32 s45, exec_lo, s45
	s_cbranch_execz .LBB2_1198
; %bb.1197:                             ;   in Loop: Header=BB2_1069 Depth=2
	ds_store_b32 v2, v75
	s_trap 2
.LBB2_1198:                             ;   in Loop: Header=BB2_1069 Depth=2
	s_or_b32 exec_lo, exec_lo, s44
	;;#ASMSTART
	s_wakeup
	;;#ASMEND
.LBB2_1199:                             ;   in Loop: Header=BB2_1069 Depth=2
	s_or_b32 exec_lo, exec_lo, s41
.LBB2_1200:                             ;   in Loop: Header=BB2_1069 Depth=2
	s_and_not1_saveexec_b32 s20, s20
	s_cbranch_execz .LBB2_1202
; %bb.1201:                             ;   in Loop: Header=BB2_1069 Depth=2
	;;#ASMSTART
	s_waitcnt lgkmcnt(0) vmcnt(0)
	;;#ASMEND
	s_barrier_signal -1
	s_barrier_wait -1
.LBB2_1202:                             ;   in Loop: Header=BB2_1069 Depth=2
	s_or_b32 exec_lo, exec_lo, s20
.LBB2_1203:                             ;   in Loop: Header=BB2_1069 Depth=2
	s_delay_alu instid0(SALU_CYCLE_1) | instskip(SKIP_2) | instid1(VALU_DEP_1)
	s_or_b32 exec_lo, exec_lo, s13
	v_and_b32_e32 v2, 32, v30
	s_mov_b32 s13, exec_lo
	v_cmpx_ne_u32_e32 0, v2
	s_cbranch_execz .LBB2_1068
; %bb.1204:                             ;   in Loop: Header=BB2_1069 Depth=2
	v_add_nc_u64_e32 v[98:99], 2, v[98:99]
	global_wb scope:SCOPE_SYS
	s_wait_storecnt 0x0
	s_wait_loadcnt_dscnt 0x0
	flat_store_b64 v[20:21], v[98:99] scope:SCOPE_SYS
	s_branch .LBB2_1068
.LBB2_1205:                             ;   in Loop: Header=BB2_47 Depth=1
	s_or_b32 exec_lo, exec_lo, s15
.LBB2_1206:                             ;   in Loop: Header=BB2_47 Depth=1
	s_delay_alu instid0(SALU_CYCLE_1) | instskip(NEXT) | instid1(SALU_CYCLE_1)
	s_or_b32 exec_lo, exec_lo, s14
	s_mov_b32 s14, exec_lo
	v_cmpx_gt_i32_e32 2, v2
	s_cbranch_execz .LBB2_46
; %bb.1207:                             ;   in Loop: Header=BB2_47 Depth=1
	v_cmp_eq_u32_e64 s16, 0, v2
	s_mov_b32 s15, 0
	s_branch .LBB2_1209
.LBB2_1208:                             ;   in Loop: Header=BB2_1209 Depth=2
	s_wait_xcnt 0x0
	s_or_b32 exec_lo, exec_lo, s13
	v_add_nc_u32_e32 v8, v115, v8
	s_mov_b32 s16, 0
	s_and_not1_b32 exec_lo, exec_lo, s15
	s_cbranch_execz .LBB2_45
.LBB2_1209:                             ;   Parent Loop BB2_47 Depth=1
                                        ; =>  This Loop Header: Depth=2
                                        ;       Child Loop BB2_1215 Depth 3
                                        ;       Child Loop BB2_1239 Depth 3
	;; [unrolled: 1-line block ×3, first 2 shown]
	v_and_b32_e32 v2, 4, v30
	s_mov_b32 s17, exec_lo
	s_delay_alu instid0(VALU_DEP_1)
	v_cmpx_ne_u32_e32 0, v2
	s_cbranch_execz .LBB2_1231
; %bb.1210:                             ;   in Loop: Header=BB2_1209 Depth=2
	v_add_nc_u64_e32 v[10:11], 2, v[98:99]
	s_mov_b32 s20, exec_lo
	s_wait_loadcnt_dscnt 0x1
	s_delay_alu instid0(VALU_DEP_1)
	v_cmpx_lt_u64_e64 v[28:29], v[10:11]
	s_cbranch_execz .LBB2_1222
; %bb.1211:                             ;   in Loop: Header=BB2_1209 Depth=2
	v_and_b32_e32 v2, 64, v30
	s_mov_b32 s41, 0
	s_mov_b32 s47, 0
                                        ; implicit-def: $sgpr44
                                        ; implicit-def: $sgpr45
                                        ; implicit-def: $sgpr46
	s_delay_alu instid0(VALU_DEP_1)
	v_cmp_eq_u32_e32 vcc_lo, 0, v2
	s_branch .LBB2_1215
.LBB2_1212:                             ;   in Loop: Header=BB2_1215 Depth=3
	s_wait_loadcnt_dscnt 0x0
	v_cmp_ge_u64_e64 s13, v[28:29], v[10:11]
	s_or_b32 s76, s76, exec_lo
	s_or_not1_b32 s75, s13, exec_lo
.LBB2_1213:                             ;   in Loop: Header=BB2_1215 Depth=3
	s_or_b32 exec_lo, exec_lo, s78
	s_delay_alu instid0(SALU_CYCLE_1)
	s_and_not1_b32 s13, s46, exec_lo
	s_and_b32 s46, s76, exec_lo
	s_and_not1_b32 s45, s45, exec_lo
	s_and_b32 s75, s75, exec_lo
	s_or_b32 s46, s13, s46
	s_or_b32 s45, s45, s75
.LBB2_1214:                             ;   in Loop: Header=BB2_1215 Depth=3
	s_or_b32 exec_lo, exec_lo, s74
	s_delay_alu instid0(SALU_CYCLE_1) | instskip(NEXT) | instid1(SALU_CYCLE_1)
	s_and_b32 s13, exec_lo, s45
	s_or_b32 s41, s13, s41
	s_and_not1_b32 s13, s44, exec_lo
	s_and_b32 s44, s46, exec_lo
	s_delay_alu instid0(SALU_CYCLE_1)
	s_or_b32 s44, s13, s44
	s_and_not1_b32 exec_lo, exec_lo, s41
	s_cbranch_execz .LBB2_1219
.LBB2_1215:                             ;   Parent Loop BB2_47 Depth=1
                                        ;     Parent Loop BB2_1209 Depth=2
                                        ; =>    This Inner Loop Header: Depth=3
	s_sleep 1
	s_wait_loadcnt_dscnt 0x0
	flat_load_b64 v[28:29], v[20:21] scope:SCOPE_SYS
	s_or_b32 s46, s46, exec_lo
	s_or_b32 s45, s45, exec_lo
                                        ; implicit-def: $vgpr2
	s_wait_xcnt 0x0
	s_and_saveexec_b32 s74, vcc_lo
	s_cbranch_execz .LBB2_1214
; %bb.1216:                             ;   in Loop: Header=BB2_1215 Depth=3
	s_cmp_lt_i32 s47, 0x270f
	s_mov_b32 s75, -1
	s_cselect_b32 s77, -1, 0
	s_cmp_gt_i32 s47, 0x270e
	s_cbranch_scc0 .LBB2_1218
; %bb.1217:                             ;   in Loop: Header=BB2_1215 Depth=3
	s_trap 2
	ds_load_b64 v[100:101], v9
	s_and_not1_b32 s47, s77, exec_lo
	s_mov_b32 s76, 0
	s_wait_storecnt 0x0
	s_wait_loadcnt_dscnt 0x0
	flat_load_b32 v2, v[100:101] scope:SCOPE_SYS
	s_wait_loadcnt_dscnt 0x0
	global_inv scope:SCOPE_SYS
	v_cmp_eq_u32_e64 s13, 0, v2
	s_and_b32 s13, s13, exec_lo
	s_delay_alu instid0(SALU_CYCLE_1)
	s_or_b32 s77, s47, s13
	s_mov_b32 s47, 0
	s_and_saveexec_b32 s78, s77
	s_cbranch_execz .LBB2_1213
	s_branch .LBB2_1212
.LBB2_1218:                             ;   in Loop: Header=BB2_1215 Depth=3
	s_add_co_i32 s47, s47, 1
	s_mov_b32 s76, -1
                                        ; implicit-def: $vgpr2
	s_and_saveexec_b32 s78, s77
	s_cbranch_execz .LBB2_1213
	s_branch .LBB2_1212
.LBB2_1219:                             ;   in Loop: Header=BB2_1209 Depth=2
	s_or_b32 exec_lo, exec_lo, s41
	s_xor_b32 s13, s44, -1
	s_delay_alu instid0(SALU_CYCLE_1) | instskip(NEXT) | instid1(SALU_CYCLE_1)
	s_and_saveexec_b32 s41, s13
	s_xor_b32 s13, exec_lo, s41
	s_cbranch_execz .LBB2_1221
; %bb.1220:                             ;   in Loop: Header=BB2_1209 Depth=2
	v_or_b32_e32 v30, 64, v30
	s_wait_storecnt 0x0
	s_wait_loadcnt_dscnt 0x0
	ds_store_b32 v9, v2
	s_trap 2
.LBB2_1221:                             ;   in Loop: Header=BB2_1209 Depth=2
	s_or_b32 exec_lo, exec_lo, s13
.LBB2_1222:                             ;   in Loop: Header=BB2_1209 Depth=2
	s_delay_alu instid0(SALU_CYCLE_1) | instskip(SKIP_3) | instid1(VALU_DEP_1)
	s_or_b32 exec_lo, exec_lo, s20
	v_and_b32_e32 v2, 0x100, v30
	s_mov_b32 s13, -1
	;;#ASMSTART
	s_wakeup
	;;#ASMEND
	v_cmp_ne_u32_e32 vcc_lo, 0, v2
	v_and_b32_e32 v2, 7, v98
                                        ; implicit-def: $vgpr98_vgpr99
	s_and_saveexec_b32 s20, vcc_lo
	s_cbranch_execz .LBB2_1226
; %bb.1223:                             ;   in Loop: Header=BB2_1209 Depth=2
	s_delay_alu instid0(VALU_DEP_1)
	v_mad_nc_u64_u32 v[100:101], v2, 24, v[6:7]
	s_mov_b32 s41, exec_lo
                                        ; implicit-def: $vgpr98_vgpr99
	flat_load_b32 v9, v[100:101]
	s_wait_loadcnt_dscnt 0x0
	v_cmp_ne_u32_e32 vcc_lo, 1, v9
	s_wait_xcnt 0x0
	v_cmpx_eq_u32_e32 1, v9
	s_cbranch_execz .LBB2_1225
; %bb.1224:                             ;   in Loop: Header=BB2_1209 Depth=2
	flat_load_b32 v98, v[100:101] offset:4 scope:SCOPE_SYS
	s_wait_loadcnt_dscnt 0x0
	v_ashrrev_i32_e32 v99, 31, v98
	s_delay_alu instid0(VALU_DEP_1)
	v_lshrrev_b64 v[98:99], 3, v[98:99]
.LBB2_1225:                             ;   in Loop: Header=BB2_1209 Depth=2
	s_wait_xcnt 0x0
	s_or_b32 exec_lo, exec_lo, s41
	s_delay_alu instid0(SALU_CYCLE_1)
	s_or_not1_b32 s13, vcc_lo, exec_lo
.LBB2_1226:                             ;   in Loop: Header=BB2_1209 Depth=2
	s_or_b32 exec_lo, exec_lo, s20
	s_and_saveexec_b32 s20, s13
; %bb.1227:                             ;   in Loop: Header=BB2_1209 Depth=2
	v_mul_u64_e32 v[98:99], v[2:3], v[22:23]
; %bb.1228:                             ;   in Loop: Header=BB2_1209 Depth=2
	s_or_b32 exec_lo, exec_lo, s20
	v_and_b32_e32 v2, 0x2000, v30
	s_delay_alu instid0(VALU_DEP_2)
	v_lshl_add_u64 v[98:99], v[98:99], 3, v[24:25]
	s_mov_b32 s13, exec_lo
	ds_store_b64 v0, v[98:99] offset:720
	v_cmpx_ne_u32_e32 0, v2
	s_cbranch_execz .LBB2_1230
; %bb.1229:                             ;   in Loop: Header=BB2_1209 Depth=2
	ds_load_b64 v[98:99], v0 offset:872
	s_wait_dscnt 0x0
	v_add_nc_u64_e32 v[98:99], 1, v[98:99]
	ds_store_b64 v0, v[98:99] offset:872
.LBB2_1230:                             ;   in Loop: Header=BB2_1209 Depth=2
	s_or_b32 exec_lo, exec_lo, s13
	v_mov_b64_e32 v[98:99], v[10:11]
.LBB2_1231:                             ;   in Loop: Header=BB2_1209 Depth=2
	s_or_b32 exec_lo, exec_lo, s17
	s_xor_b32 s13, s16, -1
	s_delay_alu instid0(SALU_CYCLE_1) | instskip(NEXT) | instid1(SALU_CYCLE_1)
	s_and_b32 s13, exec_lo, s13
	s_or_b32 s15, s13, s15
	s_and_saveexec_b32 s13, s2
	s_cbranch_execz .LBB2_1250
; %bb.1232:                             ;   in Loop: Header=BB2_1209 Depth=2
	s_and_saveexec_b32 s16, s3
	s_delay_alu instid0(SALU_CYCLE_1)
	s_xor_b32 s16, exec_lo, s16
	s_cbranch_execz .LBB2_1247
; %bb.1233:                             ;   in Loop: Header=BB2_1209 Depth=2
	s_and_saveexec_b32 s17, s6
	s_cbranch_execz .LBB2_1246
; %bb.1234:                             ;   in Loop: Header=BB2_1209 Depth=2
	s_mov_b32 s41, exec_lo
	s_mov_b32 s20, exec_lo
	v_mbcnt_lo_u32_b32 v2, s41, 0
	global_wb scope:SCOPE_DEV
	s_wait_storecnt 0x0
	s_wait_loadcnt_dscnt 0x0
	global_inv scope:SCOPE_DEV
	v_cmpx_eq_u32_e32 0, v2
	s_cbranch_execz .LBB2_1236
; %bb.1235:                             ;   in Loop: Header=BB2_1209 Depth=2
	s_bcnt1_i32_b32 s41, s41
	s_delay_alu instid0(SALU_CYCLE_1)
	v_mov_b32_e32 v2, s41
	s_wait_loadcnt 0x0
	ds_add_u64 v2, v[2:3]
	s_trap 2
.LBB2_1236:                             ;   in Loop: Header=BB2_1209 Depth=2
	s_or_b32 exec_lo, exec_lo, s20
	s_trap 2
	ds_load_b64 v[10:11], v2
	s_wait_dscnt 0x0
	v_add_nc_u64_e32 v[12:13], v[12:13], v[32:33]
	s_mov_b32 s20, exec_lo
	s_delay_alu instid0(VALU_DEP_1)
	v_cmpx_lt_u64_e64 v[10:11], v[12:13]
	s_cbranch_execz .LBB2_1245
; %bb.1237:                             ;   in Loop: Header=BB2_1209 Depth=2
	s_mov_b32 s41, 0
	s_mov_b32 s46, 0
                                        ; implicit-def: $sgpr44
                                        ; implicit-def: $sgpr45
	s_branch .LBB2_1239
.LBB2_1238:                             ;   in Loop: Header=BB2_1239 Depth=3
	s_or_b32 exec_lo, exec_lo, s74
	s_delay_alu instid0(SALU_CYCLE_1) | instskip(NEXT) | instid1(SALU_CYCLE_1)
	s_and_b32 s47, exec_lo, s75
	s_or_b32 s41, s47, s41
	s_and_not1_b32 s44, s44, exec_lo
	s_and_b32 s47, s45, exec_lo
	s_delay_alu instid0(SALU_CYCLE_1)
	s_or_b32 s44, s44, s47
	s_and_not1_b32 exec_lo, exec_lo, s41
	s_cbranch_execz .LBB2_1243
.LBB2_1239:                             ;   Parent Loop BB2_47 Depth=1
                                        ;     Parent Loop BB2_1209 Depth=2
                                        ; =>    This Inner Loop Header: Depth=3
	s_add_co_i32 s46, s46, 1
	s_delay_alu instid0(SALU_CYCLE_1) | instskip(SKIP_1) | instid1(SALU_CYCLE_1)
	s_cmp_lg_u32 s46, 0x2710
	s_cselect_b32 s47, -1, 0
	s_and_b32 vcc_lo, exec_lo, s47
	s_cbranch_vccz .LBB2_1241
; %bb.1240:                             ;   in Loop: Header=BB2_1239 Depth=3
	s_mov_b32 s75, -1
	s_or_b32 s45, s45, exec_lo
	s_and_saveexec_b32 s74, s47
	s_cbranch_execz .LBB2_1238
	s_branch .LBB2_1242
.LBB2_1241:                             ;   in Loop: Header=BB2_1239 Depth=3
	s_trap 2
	ds_load_b64 v[10:11], v2
	s_and_not1_b32 s47, s47, exec_lo
	s_mov_b32 s46, 0
	s_wait_loadcnt_dscnt 0x0
	flat_load_b32 v2, v[10:11] scope:SCOPE_SYS
	s_wait_loadcnt_dscnt 0x0
	global_inv scope:SCOPE_SYS
	v_cmp_eq_u32_e32 vcc_lo, 0, v2
	s_and_b32 s74, vcc_lo, exec_lo
	s_delay_alu instid0(SALU_CYCLE_1)
	s_or_b32 s47, s47, s74
	s_mov_b32 s75, -1
	s_or_b32 s45, s45, exec_lo
	s_and_saveexec_b32 s74, s47
	s_cbranch_execz .LBB2_1238
.LBB2_1242:                             ;   in Loop: Header=BB2_1239 Depth=3
	s_sleep 1
	s_trap 2
	ds_load_b64 v[10:11], v2
	s_wait_dscnt 0x0
	s_and_not1_b32 s45, s45, exec_lo
	v_cmp_ge_u64_e32 vcc_lo, v[10:11], v[12:13]
	s_or_not1_b32 s75, vcc_lo, exec_lo
	s_branch .LBB2_1238
.LBB2_1243:                             ;   in Loop: Header=BB2_1209 Depth=2
	s_or_b32 exec_lo, exec_lo, s41
	s_and_saveexec_b32 s41, s44
	s_delay_alu instid0(SALU_CYCLE_1)
	s_xor_b32 s41, exec_lo, s41
	s_cbranch_execz .LBB2_1245
; %bb.1244:                             ;   in Loop: Header=BB2_1209 Depth=2
	ds_store_b32 v2, v75
	s_trap 2
.LBB2_1245:                             ;   in Loop: Header=BB2_1209 Depth=2
	s_or_b32 exec_lo, exec_lo, s20
	;;#ASMSTART
	s_wakeup
	;;#ASMEND
.LBB2_1246:                             ;   in Loop: Header=BB2_1209 Depth=2
	s_or_b32 exec_lo, exec_lo, s17
.LBB2_1247:                             ;   in Loop: Header=BB2_1209 Depth=2
	s_and_not1_saveexec_b32 s16, s16
	s_cbranch_execz .LBB2_1249
; %bb.1248:                             ;   in Loop: Header=BB2_1209 Depth=2
	global_wb scope:SCOPE_DEV
	s_wait_storecnt 0x0
	s_wait_loadcnt_dscnt 0x0
	global_inv scope:SCOPE_DEV
	s_barrier_signal -1
	s_barrier_wait -1
.LBB2_1249:                             ;   in Loop: Header=BB2_1209 Depth=2
	s_or_b32 exec_lo, exec_lo, s16
.LBB2_1250:                             ;   in Loop: Header=BB2_1209 Depth=2
	s_delay_alu instid0(SALU_CYCLE_1) | instskip(SKIP_1) | instid1(VALU_DEP_1)
	s_or_b32 exec_lo, exec_lo, s13
	v_sub_nc_u32_e32 v2, v114, v8
	v_min_i32_e32 v115, v115, v2
	s_and_saveexec_b32 s13, s12
	s_delay_alu instid0(SALU_CYCLE_1)
	s_xor_b32 s16, exec_lo, s13
	s_cbranch_execz .LBB2_1254
; %bb.1251:                             ;   in Loop: Header=BB2_1209 Depth=2
	s_trap 2
	ds_load_b32 v2, v2
	v_cmp_lt_i32_e32 vcc_lo, 0, v115
	s_wait_dscnt 0x0
	v_readfirstlane_b32 s13, v2
	v_and_b32_e32 v2, 16, v30
	s_cmp_eq_u32 s13, 0
	s_delay_alu instid0(VALU_DEP_1) | instskip(SKIP_1) | instid1(SALU_CYCLE_1)
	v_cmp_ne_u32_e64 s13, 0, v2
	s_cselect_b32 s17, -1, 0
	s_and_b32 s17, vcc_lo, s17
	s_delay_alu instid0(SALU_CYCLE_1) | instskip(NEXT) | instid1(SALU_CYCLE_1)
	s_and_b32 s17, s13, s17
	s_and_saveexec_b32 s13, s17
	s_cbranch_execz .LBB2_1253
; %bb.1252:                             ;   in Loop: Header=BB2_1209 Depth=2
	global_wb scope:SCOPE_SYS
	s_wait_loadcnt 0x0
	s_wait_storecnt 0x0
	global_inv scope:SCOPE_SYS
.LBB2_1253:                             ;   in Loop: Header=BB2_1209 Depth=2
	s_or_b32 exec_lo, exec_lo, s13
.LBB2_1254:                             ;   in Loop: Header=BB2_1209 Depth=2
	s_and_not1_saveexec_b32 s13, s16
	s_cbranch_execz .LBB2_1273
; %bb.1255:                             ;   in Loop: Header=BB2_1209 Depth=2
	s_and_saveexec_b32 s16, s3
	s_delay_alu instid0(SALU_CYCLE_1)
	s_xor_b32 s16, exec_lo, s16
	s_cbranch_execz .LBB2_1270
; %bb.1256:                             ;   in Loop: Header=BB2_1209 Depth=2
	s_and_saveexec_b32 s17, s6
	s_cbranch_execz .LBB2_1269
; %bb.1257:                             ;   in Loop: Header=BB2_1209 Depth=2
	s_mov_b32 s41, exec_lo
	s_mov_b32 s20, exec_lo
	v_mbcnt_lo_u32_b32 v2, s41, 0
	;;#ASMSTART
	s_waitcnt lgkmcnt(0) vmcnt(0)
	;;#ASMEND
	s_delay_alu instid0(VALU_DEP_1)
	v_cmpx_eq_u32_e32 0, v2
	s_cbranch_execz .LBB2_1259
; %bb.1258:                             ;   in Loop: Header=BB2_1209 Depth=2
	s_bcnt1_i32_b32 s41, s41
	s_delay_alu instid0(SALU_CYCLE_1)
	v_mov_b32_e32 v2, s41
	s_wait_storecnt 0x0
	s_wait_loadcnt_dscnt 0x0
	ds_add_u64 v2, v[2:3]
	s_trap 2
.LBB2_1259:                             ;   in Loop: Header=BB2_1209 Depth=2
	s_or_b32 exec_lo, exec_lo, s20
	s_trap 2
	ds_load_b64 v[10:11], v2
	s_wait_dscnt 0x0
	v_add_nc_u64_e32 v[12:13], v[12:13], v[32:33]
	s_mov_b32 s20, exec_lo
	s_delay_alu instid0(VALU_DEP_1)
	v_cmpx_lt_u64_e64 v[10:11], v[12:13]
	s_cbranch_execz .LBB2_1268
; %bb.1260:                             ;   in Loop: Header=BB2_1209 Depth=2
	s_mov_b32 s41, 0
	s_mov_b32 s46, 0
                                        ; implicit-def: $sgpr44
                                        ; implicit-def: $sgpr45
	s_branch .LBB2_1262
.LBB2_1261:                             ;   in Loop: Header=BB2_1262 Depth=3
	s_or_b32 exec_lo, exec_lo, s74
	s_delay_alu instid0(SALU_CYCLE_1) | instskip(NEXT) | instid1(SALU_CYCLE_1)
	s_and_b32 s47, exec_lo, s75
	s_or_b32 s41, s47, s41
	s_and_not1_b32 s44, s44, exec_lo
	s_and_b32 s47, s45, exec_lo
	s_delay_alu instid0(SALU_CYCLE_1)
	s_or_b32 s44, s44, s47
	s_and_not1_b32 exec_lo, exec_lo, s41
	s_cbranch_execz .LBB2_1266
.LBB2_1262:                             ;   Parent Loop BB2_47 Depth=1
                                        ;     Parent Loop BB2_1209 Depth=2
                                        ; =>    This Inner Loop Header: Depth=3
	s_add_co_i32 s46, s46, 1
	s_delay_alu instid0(SALU_CYCLE_1) | instskip(SKIP_1) | instid1(SALU_CYCLE_1)
	s_cmp_lg_u32 s46, 0x2710
	s_cselect_b32 s47, -1, 0
	s_and_b32 vcc_lo, exec_lo, s47
	s_cbranch_vccz .LBB2_1264
; %bb.1263:                             ;   in Loop: Header=BB2_1262 Depth=3
	s_mov_b32 s75, -1
	s_or_b32 s45, s45, exec_lo
	s_and_saveexec_b32 s74, s47
	s_cbranch_execz .LBB2_1261
	s_branch .LBB2_1265
.LBB2_1264:                             ;   in Loop: Header=BB2_1262 Depth=3
	s_trap 2
	ds_load_b64 v[10:11], v2
	s_and_not1_b32 s47, s47, exec_lo
	s_mov_b32 s46, 0
	s_wait_storecnt 0x0
	s_wait_loadcnt_dscnt 0x0
	flat_load_b32 v2, v[10:11] scope:SCOPE_SYS
	s_wait_loadcnt_dscnt 0x0
	global_inv scope:SCOPE_SYS
	v_cmp_eq_u32_e32 vcc_lo, 0, v2
	s_and_b32 s74, vcc_lo, exec_lo
	s_delay_alu instid0(SALU_CYCLE_1)
	s_or_b32 s47, s47, s74
	s_mov_b32 s75, -1
	s_or_b32 s45, s45, exec_lo
	s_and_saveexec_b32 s74, s47
	s_cbranch_execz .LBB2_1261
.LBB2_1265:                             ;   in Loop: Header=BB2_1262 Depth=3
	s_sleep 1
	s_trap 2
	ds_load_b64 v[10:11], v2
	s_wait_dscnt 0x0
	s_and_not1_b32 s45, s45, exec_lo
	v_cmp_ge_u64_e32 vcc_lo, v[10:11], v[12:13]
	s_or_not1_b32 s75, vcc_lo, exec_lo
	s_branch .LBB2_1261
.LBB2_1266:                             ;   in Loop: Header=BB2_1209 Depth=2
	s_or_b32 exec_lo, exec_lo, s41
	s_and_saveexec_b32 s41, s44
	s_delay_alu instid0(SALU_CYCLE_1)
	s_xor_b32 s41, exec_lo, s41
	s_cbranch_execz .LBB2_1268
; %bb.1267:                             ;   in Loop: Header=BB2_1209 Depth=2
	ds_store_b32 v2, v75
	s_trap 2
.LBB2_1268:                             ;   in Loop: Header=BB2_1209 Depth=2
	s_or_b32 exec_lo, exec_lo, s20
	;;#ASMSTART
	s_wakeup
	;;#ASMEND
.LBB2_1269:                             ;   in Loop: Header=BB2_1209 Depth=2
	s_or_b32 exec_lo, exec_lo, s17
.LBB2_1270:                             ;   in Loop: Header=BB2_1209 Depth=2
	s_and_not1_saveexec_b32 s16, s16
	s_cbranch_execz .LBB2_1272
; %bb.1271:                             ;   in Loop: Header=BB2_1209 Depth=2
	;;#ASMSTART
	s_waitcnt lgkmcnt(0) vmcnt(0)
	;;#ASMEND
	s_barrier_signal -1
	s_barrier_wait -1
.LBB2_1272:                             ;   in Loop: Header=BB2_1209 Depth=2
	s_or_b32 exec_lo, exec_lo, s16
.LBB2_1273:                             ;   in Loop: Header=BB2_1209 Depth=2
	s_delay_alu instid0(SALU_CYCLE_1) | instskip(SKIP_2) | instid1(VALU_DEP_1)
	s_or_b32 exec_lo, exec_lo, s13
	v_and_b32_e32 v2, 32, v30
	s_mov_b32 s13, exec_lo
	v_cmpx_ne_u32_e32 0, v2
	s_cbranch_execz .LBB2_1208
; %bb.1274:                             ;   in Loop: Header=BB2_1209 Depth=2
	v_add_nc_u64_e32 v[98:99], 2, v[98:99]
	global_wb scope:SCOPE_SYS
	s_wait_storecnt 0x0
	s_wait_loadcnt_dscnt 0x0
	flat_store_b64 v[20:21], v[98:99] scope:SCOPE_SYS
	s_branch .LBB2_1208
.LBB2_1275:
	s_or_b32 exec_lo, exec_lo, s73
.LBB2_1276:
	s_delay_alu instid0(SALU_CYCLE_1) | instskip(SKIP_2) | instid1(VALU_DEP_1)
	s_or_b32 exec_lo, exec_lo, s57
	v_and_b32_e32 v0, 0x800, v30
	s_mov_b32 s1, exec_lo
	v_cmpx_eq_u32_e32 0, v0
	s_cbranch_execz .LBB2_1309
; %bb.1277:
	v_and_b32_e32 v0, 48, v30
	s_mov_b32 s0, exec_lo
	s_delay_alu instid0(VALU_DEP_1)
	v_cmpx_ne_u32_e32 0, v0
	s_cbranch_execz .LBB2_1279
; %bb.1278:
	flat_store_b64 v[18:19], v[98:99] offset:104
.LBB2_1279:
	s_wait_xcnt 0x0
	s_or_b32 exec_lo, exec_lo, s0
	v_and_b32_e32 v0, 0x88, v30
	s_mov_b32 s2, exec_lo
	s_delay_alu instid0(VALU_DEP_1)
	v_cmpx_eq_u32_e32 0x88, v0
	s_cbranch_execz .LBB2_1289
; %bb.1280:
	v_add_nc_u32_e32 v0, 6, v98
	s_mov_b32 s3, 0
	s_delay_alu instid0(VALU_DEP_1) | instskip(NEXT) | instid1(VALU_DEP_1)
	v_and_b32_e32 v0, 7, v0
	v_mad_nc_u64_u32 v[2:3], v0, 24, v[6:7]
	v_and_b32_e32 v0, 64, v30
	s_delay_alu instid0(VALU_DEP_1)
	v_cmp_eq_u32_e64 s0, 0, v0
	flat_load_b64 v[4:5], v[2:3] offset:8 scope:SCOPE_SYS
	s_wait_loadcnt_dscnt 0x0
	v_cmp_ne_u64_e32 vcc_lo, -1, v[4:5]
	s_and_b32 s0, vcc_lo, s0
	s_wait_xcnt 0x0
	s_and_b32 exec_lo, exec_lo, s0
	s_cbranch_execz .LBB2_1289
; %bb.1281:
	s_mov_b32 s5, 0
                                        ; implicit-def: $sgpr0
                                        ; implicit-def: $sgpr4
	s_branch .LBB2_1284
.LBB2_1282:                             ;   in Loop: Header=BB2_1284 Depth=1
	flat_load_b64 v[4:5], v[2:3] offset:8 scope:SCOPE_SYS
	s_wait_loadcnt 0x0
	s_and_not1_b32 s4, s4, exec_lo
	s_wait_dscnt 0x0
	v_cmp_eq_u64_e32 vcc_lo, -1, v[4:5]
	s_or_not1_b32 s7, vcc_lo, exec_lo
.LBB2_1283:                             ;   in Loop: Header=BB2_1284 Depth=1
	s_wait_xcnt 0x0
	s_or_b32 exec_lo, exec_lo, s10
	s_delay_alu instid0(SALU_CYCLE_1) | instskip(NEXT) | instid1(SALU_CYCLE_1)
	s_and_b32 s6, exec_lo, s7
	s_or_b32 s3, s6, s3
	s_and_not1_b32 s0, s0, exec_lo
	s_and_b32 s6, s4, exec_lo
	s_delay_alu instid0(SALU_CYCLE_1)
	s_or_b32 s0, s0, s6
	s_and_not1_b32 exec_lo, exec_lo, s3
	s_cbranch_execz .LBB2_1287
.LBB2_1284:                             ; =>This Inner Loop Header: Depth=1
	s_cmp_lt_i32 s5, 0x270f
	s_cselect_b32 s6, -1, 0
	s_delay_alu instid0(SALU_CYCLE_1)
	s_and_b32 vcc_lo, exec_lo, s6
	s_cbranch_vccnz .LBB2_1286
; %bb.1285:                             ;   in Loop: Header=BB2_1284 Depth=1
	s_trap 2
	ds_load_b64 v[4:5], v4
	s_and_not1_b32 s6, s6, exec_lo
	s_mov_b32 s5, 0
	s_wait_storecnt_dscnt 0x0
	flat_load_b32 v0, v[4:5] scope:SCOPE_SYS
	s_wait_loadcnt_dscnt 0x0
	global_inv scope:SCOPE_SYS
	v_cmp_eq_u32_e32 vcc_lo, 0, v0
	s_and_b32 s7, vcc_lo, exec_lo
	s_delay_alu instid0(SALU_CYCLE_1)
	s_or_b32 s6, s6, s7
	s_mov_b32 s7, -1
	s_or_b32 s4, s4, exec_lo
	s_wait_xcnt 0x0
	s_and_saveexec_b32 s10, s6
	s_cbranch_execz .LBB2_1283
	s_branch .LBB2_1282
.LBB2_1286:                             ;   in Loop: Header=BB2_1284 Depth=1
	s_add_co_i32 s5, s5, 1
                                        ; implicit-def: $vgpr0
	s_mov_b32 s7, -1
	s_or_b32 s4, s4, exec_lo
	s_and_saveexec_b32 s10, s6
	s_cbranch_execz .LBB2_1283
	s_branch .LBB2_1282
.LBB2_1287:
	s_or_b32 exec_lo, exec_lo, s3
	s_and_saveexec_b32 s3, s0
	s_delay_alu instid0(SALU_CYCLE_1)
	s_xor_b32 s3, exec_lo, s3
	s_cbranch_execz .LBB2_1289
; %bb.1288:
	s_wait_loadcnt 0x0
	s_wait_storecnt 0x0
	ds_store_b32 v2, v0
	s_trap 2
.LBB2_1289:
	s_or_b32 exec_lo, exec_lo, s2
	v_and_b32_e32 v0, 0x2000, v30
	s_mov_b32 s0, exec_lo
	s_delay_alu instid0(VALU_DEP_1)
	v_cmpx_ne_u32_e32 0, v0
	s_cbranch_execz .LBB2_1291
; %bb.1290:
	s_trap 2
	ds_load_b64 v[2:3], v0
	s_wait_dscnt 0x0
	flat_store_b64 v[16:17], v[2:3] offset:16
.LBB2_1291:
	s_wait_xcnt 0x0
	s_or_b32 exec_lo, exec_lo, s0
	v_cmp_ne_u32_e32 vcc_lo, 32, v1
	s_and_b32 exec_lo, exec_lo, vcc_lo
	s_cbranch_execz .LBB2_1309
; %bb.1292:
	s_mov_b32 s0, exec_lo
	v_cmpx_ne_u32_e64 v1, v72
	s_xor_b32 s0, exec_lo, s0
	s_cbranch_execz .LBB2_1307
; %bb.1293:
	v_and_b32_e32 v0, 31, v31
	s_mov_b32 s2, exec_lo
	s_delay_alu instid0(VALU_DEP_1)
	v_cmpx_eq_u32_e32 0, v0
	s_cbranch_execz .LBB2_1306
; %bb.1294:
	s_mov_b32 s4, exec_lo
	s_mov_b32 s3, exec_lo
	v_mbcnt_lo_u32_b32 v0, s4, 0
	global_wb scope:SCOPE_DEV
	s_wait_storecnt 0x0
	s_wait_loadcnt_dscnt 0x0
	global_inv scope:SCOPE_DEV
	v_cmpx_eq_u32_e32 0, v0
	s_cbranch_execz .LBB2_1296
; %bb.1295:
	s_bcnt1_i32_b32 s4, s4
	s_delay_alu instid0(SALU_CYCLE_1)
	v_dual_mov_b32 v3, 0 :: v_dual_mov_b32 v2, s4
	s_wait_loadcnt 0x0
	ds_add_u64 v0, v[2:3]
	s_trap 2
.LBB2_1296:
	s_or_b32 exec_lo, exec_lo, s3
	s_trap 2
	ds_load_b64 v[2:3], v2
	s_wait_dscnt 0x0
	v_dual_mov_b32 v1, 0 :: v_dual_lshrrev_b32 v0, 5, v1
	s_mov_b32 s3, exec_lo
	s_delay_alu instid0(VALU_DEP_1) | instskip(NEXT) | instid1(VALU_DEP_1)
	v_add_nc_u64_e32 v[0:1], v[12:13], v[0:1]
	v_cmpx_lt_u64_e64 v[2:3], v[0:1]
	s_cbranch_execz .LBB2_1305
; %bb.1297:
	s_mov_b32 s4, 0
	s_mov_b32 s7, 0
                                        ; implicit-def: $sgpr5
                                        ; implicit-def: $sgpr6
	s_branch .LBB2_1299
.LBB2_1298:                             ;   in Loop: Header=BB2_1299 Depth=1
	s_or_b32 exec_lo, exec_lo, s11
	s_delay_alu instid0(SALU_CYCLE_1) | instskip(NEXT) | instid1(SALU_CYCLE_1)
	s_and_b32 s10, exec_lo, s12
	s_or_b32 s4, s10, s4
	s_and_not1_b32 s5, s5, exec_lo
	s_and_b32 s10, s6, exec_lo
	s_delay_alu instid0(SALU_CYCLE_1)
	s_or_b32 s5, s5, s10
	s_and_not1_b32 exec_lo, exec_lo, s4
	s_cbranch_execz .LBB2_1303
.LBB2_1299:                             ; =>This Inner Loop Header: Depth=1
	s_add_co_i32 s7, s7, 1
	s_delay_alu instid0(SALU_CYCLE_1) | instskip(SKIP_1) | instid1(SALU_CYCLE_1)
	s_cmp_lg_u32 s7, 0x2710
	s_cselect_b32 s10, -1, 0
	s_and_b32 vcc_lo, exec_lo, s10
	s_cbranch_vccz .LBB2_1301
; %bb.1300:                             ;   in Loop: Header=BB2_1299 Depth=1
	s_mov_b32 s12, -1
	s_or_b32 s6, s6, exec_lo
	s_and_saveexec_b32 s11, s10
	s_cbranch_execz .LBB2_1298
	s_branch .LBB2_1302
.LBB2_1301:                             ;   in Loop: Header=BB2_1299 Depth=1
	s_trap 2
	ds_load_b64 v[2:3], v2
	s_and_not1_b32 s10, s10, exec_lo
	s_mov_b32 s7, 0
	s_wait_loadcnt_dscnt 0x0
	flat_load_b32 v2, v[2:3] scope:SCOPE_SYS
	s_wait_loadcnt_dscnt 0x0
	global_inv scope:SCOPE_SYS
	v_cmp_eq_u32_e32 vcc_lo, 0, v2
	s_and_b32 s11, vcc_lo, exec_lo
	s_delay_alu instid0(SALU_CYCLE_1)
	s_or_b32 s10, s10, s11
	s_mov_b32 s12, -1
	s_or_b32 s6, s6, exec_lo
	s_and_saveexec_b32 s11, s10
	s_cbranch_execz .LBB2_1298
.LBB2_1302:                             ;   in Loop: Header=BB2_1299 Depth=1
	s_sleep 1
	s_trap 2
	ds_load_b64 v[2:3], v2
	s_wait_dscnt 0x0
	s_and_not1_b32 s6, s6, exec_lo
	v_cmp_ge_u64_e32 vcc_lo, v[2:3], v[0:1]
	s_or_not1_b32 s12, vcc_lo, exec_lo
	s_branch .LBB2_1298
.LBB2_1303:
	s_or_b32 exec_lo, exec_lo, s4
	s_and_saveexec_b32 s4, s5
	s_delay_alu instid0(SALU_CYCLE_1)
	s_xor_b32 s4, exec_lo, s4
	s_cbranch_execz .LBB2_1305
; %bb.1304:
	v_mov_b32_e32 v0, 1
	ds_store_b32 v1, v0
	s_trap 2
.LBB2_1305:
	s_or_b32 exec_lo, exec_lo, s3
	;;#ASMSTART
	s_wakeup
	;;#ASMEND
.LBB2_1306:
	s_or_b32 exec_lo, exec_lo, s2
.LBB2_1307:
	s_and_not1_saveexec_b32 s0, s0
	s_cbranch_execz .LBB2_1309
; %bb.1308:
	global_wb scope:SCOPE_DEV
	s_wait_storecnt 0x0
	s_wait_loadcnt_dscnt 0x0
	global_inv scope:SCOPE_DEV
	s_barrier_signal -1
	s_barrier_wait -1
.LBB2_1309:
	s_or_b32 exec_lo, exec_lo, s1
.LBB2_1310:
	s_and_not1_saveexec_b32 s21, s56
	s_cbranch_execz .LBB2_1312
; %bb.1311:
	s_get_pc_i64 s[0:1]
	s_add_nc_u64 s[0:1], s[0:1], __PRETTY_FUNCTION__._ZN10PrimitivesIm14FuncSumPostDivImE12FanSymmetricILi1EELi0E11ProtoSimpleILi2ELi2ELi0ELi1ELi0ELi0EELi0ELb0ELi0ELi0ELi0EEC2EiiPKiS8_PKvPvmhhhP15ncclDevWorkCollP14ncclDevWorkP2pii@rel64+4
	s_get_pc_i64 s[2:3]
	s_add_nc_u64 s[2:3], s[2:3], __assert_fail@rel64+4
	v_dual_mov_b32 v0, s0 :: v_dual_mov_b32 v1, s1
	s_swap_pc_i64 s[30:31], s[2:3]
	; divergent unreachable
.LBB2_1312:
	s_or_b32 exec_lo, exec_lo, s21
	s_clause 0x27
	scratch_load_b32 v111, off, s33
	scratch_load_b32 v110, off, s33 offset:4
	scratch_load_b32 v109, off, s33 offset:8
	;; [unrolled: 1-line block ×39, first 2 shown]
	v_readlane_b32 s30, v120, 0
	v_readlane_b32 s31, v120, 1
	s_mov_b32 s32, s33
	s_wait_xcnt 0x0
	s_or_saveexec_b32 s0, -1
	scratch_load_b32 v120, off, s33 offset:160 ; 4-byte Folded Reload
	s_wait_xcnt 0x0
	s_mov_b32 exec_lo, s0
	s_mov_b32 s33, s89
	s_wait_loadcnt_dscnt 0x0
	s_set_pc_i64 s[30:31]
.Lfunc_end2:
	.size	_ZN12_GLOBAL__N_17runRingIm14FuncSumPostDivImE11ProtoSimpleILi2ELi2ELi0ELi1ELi0ELi0EELi0ELi0ELi1ELi0EEEviiP15ncclDevWorkColl, .Lfunc_end2-_ZN12_GLOBAL__N_17runRingIm14FuncSumPostDivImE11ProtoSimpleILi2ELi2ELi0ELi1ELi0ELi0EELi0ELi0ELi1ELi0EEEviiP15ncclDevWorkColl
                                        ; -- End function
	.set .L_ZN12_GLOBAL__N_17runRingIm14FuncSumPostDivImE11ProtoSimpleILi2ELi2ELi0ELi1ELi0ELi0EELi0ELi0ELi1ELi0EEEviiP15ncclDevWorkColl.num_vgpr, max(121, .L__assert_fail.num_vgpr)
	.set .L_ZN12_GLOBAL__N_17runRingIm14FuncSumPostDivImE11ProtoSimpleILi2ELi2ELi0ELi1ELi0ELi0EELi0ELi0ELi1ELi0EEEviiP15ncclDevWorkColl.num_agpr, max(0, .L__assert_fail.num_agpr)
	.set .L_ZN12_GLOBAL__N_17runRingIm14FuncSumPostDivImE11ProtoSimpleILi2ELi2ELi0ELi1ELi0ELi0EELi0ELi0ELi1ELi0EEEviiP15ncclDevWorkColl.numbered_sgpr, max(90, .L__assert_fail.numbered_sgpr)
	.set .L_ZN12_GLOBAL__N_17runRingIm14FuncSumPostDivImE11ProtoSimpleILi2ELi2ELi0ELi1ELi0ELi0EELi0ELi0ELi1ELi0EEEviiP15ncclDevWorkColl.num_named_barrier, max(0, .L__assert_fail.num_named_barrier)
	.set .L_ZN12_GLOBAL__N_17runRingIm14FuncSumPostDivImE11ProtoSimpleILi2ELi2ELi0ELi1ELi0ELi0EELi0ELi0ELi1ELi0EEEviiP15ncclDevWorkColl.private_seg_size, 176+max(.L__assert_fail.private_seg_size)
	.set .L_ZN12_GLOBAL__N_17runRingIm14FuncSumPostDivImE11ProtoSimpleILi2ELi2ELi0ELi1ELi0ELi0EELi0ELi0ELi1ELi0EEEviiP15ncclDevWorkColl.uses_vcc, or(1, .L__assert_fail.uses_vcc)
	.set .L_ZN12_GLOBAL__N_17runRingIm14FuncSumPostDivImE11ProtoSimpleILi2ELi2ELi0ELi1ELi0ELi0EELi0ELi0ELi1ELi0EEEviiP15ncclDevWorkColl.uses_flat_scratch, or(1, .L__assert_fail.uses_flat_scratch)
	.set .L_ZN12_GLOBAL__N_17runRingIm14FuncSumPostDivImE11ProtoSimpleILi2ELi2ELi0ELi1ELi0ELi0EELi0ELi0ELi1ELi0EEEviiP15ncclDevWorkColl.has_dyn_sized_stack, or(0, .L__assert_fail.has_dyn_sized_stack)
	.set .L_ZN12_GLOBAL__N_17runRingIm14FuncSumPostDivImE11ProtoSimpleILi2ELi2ELi0ELi1ELi0ELi0EELi0ELi0ELi1ELi0EEEviiP15ncclDevWorkColl.has_recursion, or(1, .L__assert_fail.has_recursion)
	.set .L_ZN12_GLOBAL__N_17runRingIm14FuncSumPostDivImE11ProtoSimpleILi2ELi2ELi0ELi1ELi0ELi0EELi0ELi0ELi1ELi0EEEviiP15ncclDevWorkColl.has_indirect_call, or(0, .L__assert_fail.has_indirect_call)
	.section	.AMDGPU.csdata,"",@progbits
; Function info:
; codeLenInByte = 75352
; TotalNumSgprs: 92
; NumVgprs: 121
; ScratchSize: 240
; MemoryBound: 1
	.text
	.p2align	2                               ; -- Begin function _Z54ncclDevFunc_AllReduce_RING_SIMPLE_SumPostDiv_u64_0_0_1v
	.type	_Z54ncclDevFunc_AllReduce_RING_SIMPLE_SumPostDiv_u64_0_0_1v,@function
_Z54ncclDevFunc_AllReduce_RING_SIMPLE_SumPostDiv_u64_0_0_1v: ; @_Z54ncclDevFunc_AllReduce_RING_SIMPLE_SumPostDiv_u64_0_0_1v
; %bb.0:
	s_wait_loadcnt_dscnt 0x0
	s_wait_kmcnt 0x0
	s_mov_b32 s0, s33
	s_mov_b32 s33, s32
	s_or_saveexec_b32 s1, -1
	scratch_store_b32 off, v42, s33 offset:12 ; 4-byte Folded Spill
	s_wait_xcnt 0x0
	s_mov_b32 exec_lo, s1
	v_writelane_b32 v42, s0, 2
	s_add_co_i32 s32, s32, 32
	s_clause 0x2
	scratch_store_b32 off, v40, s33 offset:8
	; meta instruction
	scratch_store_b32 off, v41, s33 offset:4
	; meta instruction
	scratch_store_b32 off, v120, s33
	v_writelane_b32 v42, s30, 0
	v_writelane_b32 v42, s31, 1
	s_trap 2
	ds_load_b32 v0, v0
	s_wait_xcnt 0x2
	v_mov_b32_e32 v40, v31
	s_mov_b32 s92, s12
	s_mov_b64 s[90:91], s[8:9]
	s_mov_b32 s2, exec_lo
	s_wait_xcnt 0x1
	v_and_b32_e32 v41, 0x3ff, v40
	s_wait_dscnt 0x0
	s_wait_xcnt 0x0
	s_delay_alu instid0(VALU_DEP_1)
	v_cmpx_lt_i32_e64 v41, v0
	s_cbranch_execz .LBB3_5
; %bb.1:
	s_load_b32 s0, s[90:91], 0x0
	s_bfe_u32 s1, ttmp6, 0x4000c
	s_and_b32 s3, ttmp6, 15
	s_add_co_i32 s1, s1, 1
	s_getreg_b32 s4, hwreg(HW_REG_IB_STS2, 6, 4)
	s_mul_i32 s1, ttmp9, s1
	v_mov_b32_e32 v2, v41
	s_add_co_i32 s3, s3, s1
	s_cmp_eq_u32 s4, 0
                                        ; implicit-def: $vgpr3
	s_cselect_b32 s1, ttmp9, s3
	s_wait_kmcnt 0x0
	s_cmp_lt_u32 s1, s0
	s_mov_b32 s1, 0
	s_cselect_b32 s0, 12, 18
	s_delay_alu instid0(SALU_CYCLE_1)
	s_add_nc_u64 s[4:5], s[90:91], s[0:1]
	s_load_u16 s0, s[4:5], 0x0
	s_trap 2
	ds_load_b32 v1, v0
	s_wait_dscnt 0x0
	s_wait_kmcnt 0x0
	v_mul_lo_u32 v1, v1, s0
	s_branch .LBB3_3
.LBB3_2:                                ;   in Loop: Header=BB3_3 Depth=1
	s_wait_xcnt 0x0
	s_or_b32 exec_lo, exec_lo, s3
	v_dual_add_nc_u32 v2, s0, v2 :: v_dual_add_nc_u32 v3, v3, v1
	s_delay_alu instid0(VALU_DEP_1) | instskip(SKIP_1) | instid1(SALU_CYCLE_1)
	v_cmp_ge_i32_e32 vcc_lo, v2, v0
	s_or_b32 s1, vcc_lo, s1
	s_and_not1_b32 exec_lo, exec_lo, s1
	s_cbranch_execz .LBB3_5
.LBB3_3:                                ; =>This Inner Loop Header: Depth=1
	ds_load_b32 v4, v3
	s_mov_b32 s3, exec_lo
	s_wait_dscnt 0x0
	v_and_b32_e32 v4, 0x1000000, v4
	s_delay_alu instid0(VALU_DEP_1)
	v_cmpx_ne_u32_e32 0, v4
	s_cbranch_execz .LBB3_2
; %bb.4:                                ;   in Loop: Header=BB3_3 Depth=1
	ds_load_b64 v[4:5], v3 offset:104
	s_wait_dscnt 0x0
	flat_load_b64 v[4:5], v[4:5]
	s_wait_loadcnt_dscnt 0x0
	ds_store_b64 v3, v[4:5] offset:104
	s_branch .LBB3_2
.LBB3_5:
	s_or_b32 exec_lo, exec_lo, s2
	s_wait_storecnt_dscnt 0x0
	s_barrier_signal -1
	s_barrier_wait -1
	s_trap 2
	ds_load_b32 v0, v0
	s_wait_dscnt 0x0
	v_cmp_gt_i32_e32 vcc_lo, 1, v0
	s_cbranch_vccnz .LBB3_13
; %bb.6:
	s_mov_b32 s93, 0
	s_get_pc_i64 s[94:95]
	s_add_nc_u64 s[94:95], s[94:95], _ZN12_GLOBAL__N_17runRingIm14FuncSumPostDivImE11ProtoSimpleILi2ELi2ELi0ELi1ELi0ELi0EELi0ELi0ELi1ELi0EEEviiP15ncclDevWorkColl@rel64+4
	s_branch .LBB3_8
.LBB3_7:                                ;   in Loop: Header=BB3_8 Depth=1
	s_or_b32 exec_lo, exec_lo, vcc_hi
	s_trap 2
	ds_load_b32 v0, v0
	s_add_co_i32 s93, s93, 1
	s_wait_dscnt 0x0
	v_cmp_lt_i32_e32 vcc_lo, s93, v0
	s_cbranch_vccz .LBB3_13
.LBB3_8:                                ; =>This Inner Loop Header: Depth=1
	s_trap 2
	ds_load_b32 v0, v0
	s_cmp_eq_u32 s93, 0
	s_cbranch_scc1 .LBB3_11
; %bb.9:                                ;   in Loop: Header=BB3_8 Depth=1
	s_trap 2
	s_wait_dscnt 0x0
	ds_load_b32 v1, v0
	s_wait_dscnt 0x0
	v_xor_b32_e32 v1, v1, v0
	s_delay_alu instid0(VALU_DEP_1) | instskip(NEXT) | instid1(VALU_DEP_1)
	v_and_b32_e32 v1, 0xff0000, v1
	v_cmp_eq_u32_e32 vcc_lo, 0, v1
	s_cbranch_vccnz .LBB3_11
; %bb.10:                               ;   in Loop: Header=BB3_8 Depth=1
	s_barrier_signal -1
	s_barrier_wait -1
	ds_load_b32 v0, v0
.LBB3_11:                               ;   in Loop: Header=BB3_8 Depth=1
	s_wait_dscnt 0x0
	v_lshrrev_b32_e32 v0, 11, v0
	s_mov_b32 vcc_hi, exec_lo
	s_delay_alu instid0(VALU_DEP_1) | instskip(NEXT) | instid1(VALU_DEP_1)
	v_and_b32_e32 v1, 0x1fe0, v0
	v_cmpx_lt_u32_e64 v41, v1
	s_cbranch_execz .LBB3_7
; %bb.12:                               ;   in Loop: Header=BB3_8 Depth=1
	s_mov_b64 s[0:1], src_shared_base
	v_dual_mov_b32 v31, v40 :: v_dual_mov_b32 v0, v41
	v_mov_b32_e32 v3, s1
	s_mov_b64 s[8:9], s[90:91]
	s_mov_b32 s12, s92
	s_swap_pc_i64 s[30:31], s[94:95]
	s_branch .LBB3_7
.LBB3_13:
	s_clause 0x2
	scratch_load_b32 v120, off, s33
	scratch_load_b32 v41, off, s33 offset:4
	scratch_load_b32 v40, off, s33 offset:8
	v_readlane_b32 s30, v42, 0
	v_readlane_b32 s31, v42, 1
	s_mov_b32 s32, s33
	v_readlane_b32 s0, v42, 2
	s_wait_xcnt 0x0
	s_or_saveexec_b32 s1, -1
	scratch_load_b32 v42, off, s33 offset:12 ; 4-byte Folded Reload
	s_wait_xcnt 0x0
	s_mov_b32 exec_lo, s1
	s_mov_b32 s33, s0
	s_wait_loadcnt 0x0
	s_set_pc_i64 s[30:31]
.Lfunc_end3:
	.size	_Z54ncclDevFunc_AllReduce_RING_SIMPLE_SumPostDiv_u64_0_0_1v, .Lfunc_end3-_Z54ncclDevFunc_AllReduce_RING_SIMPLE_SumPostDiv_u64_0_0_1v
                                        ; -- End function
	.set .L_Z54ncclDevFunc_AllReduce_RING_SIMPLE_SumPostDiv_u64_0_0_1v.num_vgpr, max(121, .L_ZN12_GLOBAL__N_17runRingIm14FuncSumPostDivImE11ProtoSimpleILi2ELi2ELi0ELi1ELi0ELi0EELi0ELi0ELi1ELi0EEEviiP15ncclDevWorkColl.num_vgpr)
	.set .L_Z54ncclDevFunc_AllReduce_RING_SIMPLE_SumPostDiv_u64_0_0_1v.num_agpr, max(0, .L_ZN12_GLOBAL__N_17runRingIm14FuncSumPostDivImE11ProtoSimpleILi2ELi2ELi0ELi1ELi0ELi0EELi0ELi0ELi1ELi0EEEviiP15ncclDevWorkColl.num_agpr)
	.set .L_Z54ncclDevFunc_AllReduce_RING_SIMPLE_SumPostDiv_u64_0_0_1v.numbered_sgpr, max(96, .L_ZN12_GLOBAL__N_17runRingIm14FuncSumPostDivImE11ProtoSimpleILi2ELi2ELi0ELi1ELi0ELi0EELi0ELi0ELi1ELi0EEEviiP15ncclDevWorkColl.numbered_sgpr)
	.set .L_Z54ncclDevFunc_AllReduce_RING_SIMPLE_SumPostDiv_u64_0_0_1v.num_named_barrier, max(0, .L_ZN12_GLOBAL__N_17runRingIm14FuncSumPostDivImE11ProtoSimpleILi2ELi2ELi0ELi1ELi0ELi0EELi0ELi0ELi1ELi0EEEviiP15ncclDevWorkColl.num_named_barrier)
	.set .L_Z54ncclDevFunc_AllReduce_RING_SIMPLE_SumPostDiv_u64_0_0_1v.private_seg_size, 32+max(.L_ZN12_GLOBAL__N_17runRingIm14FuncSumPostDivImE11ProtoSimpleILi2ELi2ELi0ELi1ELi0ELi0EELi0ELi0ELi1ELi0EEEviiP15ncclDevWorkColl.private_seg_size)
	.set .L_Z54ncclDevFunc_AllReduce_RING_SIMPLE_SumPostDiv_u64_0_0_1v.uses_vcc, or(1, .L_ZN12_GLOBAL__N_17runRingIm14FuncSumPostDivImE11ProtoSimpleILi2ELi2ELi0ELi1ELi0ELi0EELi0ELi0ELi1ELi0EEEviiP15ncclDevWorkColl.uses_vcc)
	.set .L_Z54ncclDevFunc_AllReduce_RING_SIMPLE_SumPostDiv_u64_0_0_1v.uses_flat_scratch, or(1, .L_ZN12_GLOBAL__N_17runRingIm14FuncSumPostDivImE11ProtoSimpleILi2ELi2ELi0ELi1ELi0ELi0EELi0ELi0ELi1ELi0EEEviiP15ncclDevWorkColl.uses_flat_scratch)
	.set .L_Z54ncclDevFunc_AllReduce_RING_SIMPLE_SumPostDiv_u64_0_0_1v.has_dyn_sized_stack, or(0, .L_ZN12_GLOBAL__N_17runRingIm14FuncSumPostDivImE11ProtoSimpleILi2ELi2ELi0ELi1ELi0ELi0EELi0ELi0ELi1ELi0EEEviiP15ncclDevWorkColl.has_dyn_sized_stack)
	.set .L_Z54ncclDevFunc_AllReduce_RING_SIMPLE_SumPostDiv_u64_0_0_1v.has_recursion, or(1, .L_ZN12_GLOBAL__N_17runRingIm14FuncSumPostDivImE11ProtoSimpleILi2ELi2ELi0ELi1ELi0ELi0EELi0ELi0ELi1ELi0EEEviiP15ncclDevWorkColl.has_recursion)
	.set .L_Z54ncclDevFunc_AllReduce_RING_SIMPLE_SumPostDiv_u64_0_0_1v.has_indirect_call, or(0, .L_ZN12_GLOBAL__N_17runRingIm14FuncSumPostDivImE11ProtoSimpleILi2ELi2ELi0ELi1ELi0ELi0EELi0ELi0ELi1ELi0EEEviiP15ncclDevWorkColl.has_indirect_call)
	.section	.AMDGPU.csdata,"",@progbits
; Function info:
; codeLenInByte = 756
; TotalNumSgprs: 98
; NumVgprs: 121
; ScratchSize: 272
; MemoryBound: 0
	.text
	.p2align	2                               ; -- Begin function _ZN12_GLOBAL__N_17runRingIm14FuncSumPostDivImE11ProtoSimpleILi2ELi2ELi0ELi2ELi0ELi0EELi0ELi0ELi2ELi0EEEviiP15ncclDevWorkColl
	.type	_ZN12_GLOBAL__N_17runRingIm14FuncSumPostDivImE11ProtoSimpleILi2ELi2ELi0ELi2ELi0ELi0EELi0ELi0ELi2ELi0EEEviiP15ncclDevWorkColl,@function
_ZN12_GLOBAL__N_17runRingIm14FuncSumPostDivImE11ProtoSimpleILi2ELi2ELi0ELi2ELi0ELi0EELi0ELi0ELi2ELi0EEEviiP15ncclDevWorkColl: ; @_ZN12_GLOBAL__N_17runRingIm14FuncSumPostDivImE11ProtoSimpleILi2ELi2ELi0ELi2ELi0ELi0EELi0ELi0ELi2ELi0EEEviiP15ncclDevWorkColl
; %bb.0:
	s_wait_loadcnt_dscnt 0x0
	s_wait_kmcnt 0x0
	s_mov_b32 s89, s33
	s_mov_b32 s33, s32
	s_or_saveexec_b32 s0, -1
	scratch_store_b32 off, v125, s33 offset:196 ; 4-byte Folded Spill
	s_wait_xcnt 0x0
	s_mov_b32 exec_lo, s0
	s_addk_co_i32 s32, 0xd0
	s_clause 0x2c
	scratch_store_b32 off, v40, s33 offset:176
	; meta instruction
	scratch_store_b32 off, v41, s33 offset:172
	; meta instruction
	;; [unrolled: 2-line block ×44, first 2 shown]
	scratch_store_b32 off, v124, s33
	v_writelane_b32 v125, s30, 0
	v_writelane_b32 v125, s31, 1
	s_trap 2
	flat_load_b32 v7, v[2:3]
	ds_load_b32 v6, v4
	s_mov_b32 s0, exec_lo
                                        ; implicit-def: $vgpr14_vgpr15
                                        ; implicit-def: $vgpr24_vgpr25
                                        ; implicit-def: $vgpr4_vgpr5
	s_wait_dscnt 0x0
	v_readfirstlane_b32 s18, v6
	s_wait_loadcnt 0x0
	v_and_b32_e32 v8, 0xff, v7
	s_wait_xcnt 0x0
	s_delay_alu instid0(VALU_DEP_1)
	v_cmpx_ne_u32_e64 v6, v8
	s_xor_b32 s0, exec_lo, s0
	s_cbranch_execz .LBB4_6
; %bb.1:
	v_bfe_u32 v9, v7, 8, 8
	v_not_b32_e32 v8, v8
	s_mov_b32 s1, exec_lo
                                        ; implicit-def: $vgpr14_vgpr15
                                        ; implicit-def: $vgpr24_vgpr25
                                        ; implicit-def: $vgpr4_vgpr5
	s_delay_alu instid0(VALU_DEP_2)
	v_cmpx_ne_u32_e64 v6, v9
	s_xor_b32 s1, exec_lo, s1
	s_cbranch_execz .LBB4_3
; %bb.2:
	s_clause 0x1
	flat_load_b128 v[10:13], v[2:3] offset:72
	flat_load_b64 v[4:5], v[2:3] offset:96
	v_add_nc_u32_e32 v6, v6, v8
                                        ; implicit-def: $vgpr9
                                        ; implicit-def: $vgpr8
	s_wait_loadcnt_dscnt 0x101
	s_delay_alu instid0(VALU_DEP_1) | instskip(SKIP_3) | instid1(VALU_DEP_3)
	v_mad_nc_u64_u32 v[24:25], v12, v6, v[10:11]
	s_wait_loadcnt_dscnt 0x0
	v_lshrrev_b64 v[14:15], 15, v[4:5]
	v_mov_b64_e32 v[4:5], v[12:13]
	v_mad_u32 v7, v13, v6, v25
	v_ashrrev_i32_e32 v6, 31, v6
	s_delay_alu instid0(VALU_DEP_1)
	v_mad_u32 v25, v12, v6, v7
.LBB4_3:
	s_wait_xcnt 0x0
	s_and_not1_saveexec_b32 s1, s1
	s_cbranch_execz .LBB4_5
; %bb.4:
	s_clause 0x1
	flat_load_b128 v[10:13], v[2:3] offset:72
	flat_load_b128 v[4:7], v[2:3] offset:88
	s_wait_loadcnt_dscnt 0x0
	v_dual_add_nc_u32 v6, v9, v8 :: v_dual_lshrrev_b32 v14, 4, v7
	s_delay_alu instid0(VALU_DEP_1) | instskip(NEXT) | instid1(VALU_DEP_1)
	v_mad_nc_u64_u32 v[24:25], v12, v6, v[10:11]
	v_mad_u32 v8, v13, v6, v25
	v_ashrrev_i32_e32 v6, 31, v6
	s_delay_alu instid0(VALU_DEP_1)
	v_mad_u32 v25, v12, v6, v8
.LBB4_5:
	s_wait_xcnt 0x0
	s_or_b32 exec_lo, exec_lo, s1
.LBB4_6:
	s_and_not1_saveexec_b32 s0, s0
	s_cbranch_execz .LBB4_8
; %bb.7:
	s_clause 0x1
	flat_load_b64 v[6:7], v[2:3] offset:96
	flat_load_b64 v[4:5], v[2:3] offset:72
	v_mov_b64_e32 v[24:25], 0
	s_wait_loadcnt_dscnt 0x101
	v_lshlrev_b64_e32 v[14:15], 6, v[6:7]
.LBB4_8:
	s_wait_xcnt 0x0
	s_or_b32 exec_lo, exec_lo, s0
	s_trap 2
	ds_load_b64 v[6:7], v7
	s_mov_b32 s1, 0
	s_mov_b32 s2, exec_lo
	s_wait_dscnt 0x0
	v_cmp_ne_u32_e32 vcc_lo, -1, v6
	v_cndmask_b32_e64 v15, 0, 1, vcc_lo
	v_cmp_ne_u32_e32 vcc_lo, -1, v7
	s_delay_alu instid0(VALU_DEP_2) | instskip(NEXT) | instid1(VALU_DEP_1)
	v_add_co_ci_u32_e64 v8, null, 0, v15, vcc_lo
	v_lshlrev_b32_e32 v6, 1, v8
	s_delay_alu instid0(VALU_DEP_1)
	v_cmpx_le_u32_e64 v6, v1
	s_xor_b32 s46, exec_lo, s2
	s_cbranch_execz .LBB4_1294
; %bb.9:
	s_clause 0x3
	flat_load_b128 v[10:13], v[2:3] offset:16
	flat_load_b64 v[16:17], v[2:3] offset:104
	flat_load_u16 v7, v[2:3] offset:8
	flat_load_b32 v6, v[2:3] offset:4
	s_trap 2
	s_load_b32 s0, s[8:9], 0x0
	s_bfe_u32 s2, ttmp6, 0x4000c
	s_and_b32 s3, ttmp6, 15
	s_add_co_i32 s2, s2, 1
	s_getreg_b32 s4, hwreg(HW_REG_IB_STS2, 6, 4)
	s_mul_i32 s2, ttmp9, s2
	v_dual_mov_b32 v9, 0 :: v_dual_mov_b32 v30, 4
	s_add_co_i32 s3, s3, s2
	s_cmp_eq_u32 s4, 0
	s_cselect_b32 s2, ttmp9, s3
	s_wait_kmcnt 0x0
	s_cmp_lt_u32 s2, s0
	s_cselect_b32 s0, 12, 18
	s_delay_alu instid0(SALU_CYCLE_1)
	s_add_nc_u64 s[0:1], s[8:9], s[0:1]
	global_load_u16 v18, v9, s[0:1]
	s_wait_xcnt 0x0
	ds_load_b32 v9, v19
	s_mov_b32 s1, exec_lo
	s_wait_dscnt 0x0
	v_readfirstlane_b32 s6, v9
	v_cmpx_ge_u32_e64 v0, v15
	s_cbranch_execz .LBB4_19
; %bb.10:
	v_cmp_ge_u32_e64 s0, v0, v8
                                        ; implicit-def: $vgpr30
	s_and_saveexec_b32 s2, s0
	s_delay_alu instid0(SALU_CYCLE_1)
	s_xor_b32 s0, exec_lo, s2
	s_cbranch_execz .LBB4_16
; %bb.11:
	v_cndmask_b32_e64 v9, 0, 1, vcc_lo
	s_mov_b32 s2, exec_lo
	s_delay_alu instid0(VALU_DEP_1) | instskip(NEXT) | instid1(VALU_DEP_1)
	v_sub_nc_u32_e32 v9, v1, v9
	v_cmpx_ge_u32_e64 v0, v9
	s_xor_b32 s2, exec_lo, s2
; %bb.12:
                                        ; implicit-def: $vgpr8
; %bb.13:
	s_delay_alu instid0(SALU_CYCLE_1)
	s_or_saveexec_b32 s2, s2
	v_mov_b32_e32 v30, 16
	s_xor_b32 exec_lo, exec_lo, s2
; %bb.14:
	v_sub_nc_u32_e32 v8, v1, v8
	s_delay_alu instid0(VALU_DEP_1)
	v_cmp_lt_i32_e32 vcc_lo, v0, v8
	v_cndmask_b32_e64 v30, 32, 0, vcc_lo
; %bb.15:
	s_or_b32 exec_lo, exec_lo, s2
.LBB4_16:
	s_and_not1_saveexec_b32 s0, s0
; %bb.17:
	v_mov_b32_e32 v30, 8
; %bb.18:
	s_or_b32 exec_lo, exec_lo, s0
.LBB4_19:
	s_delay_alu instid0(SALU_CYCLE_1) | instskip(NEXT) | instid1(VALU_DEP_1)
	s_or_b32 exec_lo, exec_lo, s1
	v_dual_mov_b32 v19, -1 :: v_dual_bitop2_b32 v8, 36, v30 bitop3:0x40
	s_delay_alu instid0(VALU_DEP_1)
	v_cmp_ne_u32_e32 vcc_lo, 0, v8
	s_and_saveexec_b32 s0, vcc_lo
	s_cbranch_execz .LBB4_21
; %bb.20:
	s_trap 2
	ds_load_b32 v19, v8
.LBB4_21:
	s_or_b32 exec_lo, exec_lo, s0
	v_and_b32_e32 v8, 24, v30
	s_mov_b32 s1, exec_lo
	s_delay_alu instid0(VALU_DEP_1)
	v_cmpx_ne_u32_e32 0, v8
	s_cbranch_execz .LBB4_23
; %bb.22:
	s_trap 2
	s_wait_dscnt 0x0
	ds_load_b32 v19, v8
.LBB4_23:
	s_or_b32 exec_lo, exec_lo, s1
	s_wait_loadcnt 0x1
	v_lshrrev_b64 v[8:9], 31, v[6:7]
	v_mov_b64_e32 v[22:23], 0
	v_mov_b64_e32 v[6:7], 0
                                        ; implicit-def: $vgpr34
                                        ; implicit-def: $vgpr114_vgpr115
                                        ; implicit-def: $vgpr36_vgpr37
                                        ; implicit-def: $vgpr50_vgpr51
                                        ; implicit-def: $vgpr32_vgpr33
	s_delay_alu instid0(VALU_DEP_3)
	v_and_b32_e32 v20, 3, v8
                                        ; implicit-def: $vgpr8_vgpr9
                                        ; kill: killed $vgpr8_vgpr9
	s_and_saveexec_b32 s0, vcc_lo
	s_cbranch_execz .LBB4_33
; %bb.24:
	s_trap 2
	ds_load_b64 v[6:7], v7
	v_and_b32_e32 v8, 0xffff, v20
	s_wait_dscnt 0x0
	v_readfirstlane_b32 s2, v6
	v_readfirstlane_b32 s3, v7
	flat_load_b64 v[6:7], v19, s[2:3] scale_offset
	s_wait_loadcnt_dscnt 0x0
	v_mad_nc_u64_u32 v[8:9], 0xa8, v8, v[6:7]
	flat_load_b32 v6, v[8:9] offset:640
	s_wait_loadcnt_dscnt 0x0
	v_cmp_eq_u32_e32 vcc_lo, 1, v6
                                        ; implicit-def: $vgpr6_vgpr7
                                        ; kill: killed $vgpr6_vgpr7
	s_wait_xcnt 0x0
	s_and_saveexec_b32 s1, vcc_lo
	s_cbranch_execz .LBB4_26
; %bb.25:
	flat_load_b64 v[22:23], v[8:9] offset:648
	v_or_b32_e32 v30, 0x2000, v30
	s_wait_loadcnt_dscnt 0x0
	flat_load_b64 v[6:7], v[22:23]
	s_trap 2
	scratch_store_b64 off, v[22:23], s33 offset:188 ; 8-byte Folded Spill
	s_wait_loadcnt_dscnt 0x0
	ds_store_b64 v21, v[6:7]
	flat_load_b64 v[6:7], v[22:23] offset:8
	s_wait_loadcnt_dscnt 0x0
	ds_store_b64 v21, v[6:7]
	flat_load_b64 v[6:7], v[22:23] offset:16
	s_wait_loadcnt_dscnt 0x0
	ds_store_b64 v21, v[6:7]
.LBB4_26:
	s_wait_xcnt 0x0
	s_or_b32 exec_lo, exec_lo, s1
	flat_load_b64 v[6:7], v[8:9] offset:608
	s_mov_b32 s1, exec_lo
                                        ; implicit-def: $vgpr32_vgpr33
	s_wait_loadcnt_dscnt 0x0
	v_add_nc_u64_e32 v[114:115], 3, v[6:7]
	v_and_b32_e32 v6, 32, v30
	s_delay_alu instid0(VALU_DEP_2) | instskip(SKIP_1) | instid1(VALU_DEP_2)
	v_and_b32_e32 v114, -4, v114
	s_wait_xcnt 0x0
	v_cmpx_ne_u32_e32 0, v6
	s_cbranch_execz .LBB4_28
; %bb.27:
	flat_load_b64 v[32:33], v[8:9] offset:560
	global_wb scope:SCOPE_SYS
	s_wait_storecnt 0x0
	s_wait_xcnt 0x0
	s_wait_loadcnt_dscnt 0x0
	flat_store_b64 v[32:33], v[114:115] scope:SCOPE_SYS
.LBB4_28:
	s_wait_xcnt 0x0
	s_or_b32 exec_lo, exec_lo, s1
	v_add_nc_u64_e32 v[22:23], 0x1f8, v[8:9]
	v_mov_b64_e32 v[6:7], 0
	v_and_b32_e32 v21, 4, v30
	s_mov_b32 s1, exec_lo
                                        ; implicit-def: $vgpr34
                                        ; implicit-def: $vgpr36_vgpr37
                                        ; implicit-def: $vgpr50_vgpr51
	s_delay_alu instid0(VALU_DEP_1)
	v_cmpx_ne_u32_e32 0, v21
	s_cbranch_execz .LBB4_32
; %bb.29:
	v_and_b32_e32 v6, 0x800, v30
	s_mov_b32 s2, exec_lo
	s_delay_alu instid0(VALU_DEP_1)
	v_cmpx_eq_u32_e32 0, v6
	s_cbranch_execz .LBB4_31
; %bb.30:
	s_trap 2
	ds_store_b64 v6, v[22:23]
.LBB4_31:
	s_or_b32 exec_lo, exec_lo, s2
	flat_load_b64 v[32:33], v[8:9] offset:552
	s_wait_loadcnt_dscnt 0x0
	flat_load_b64 v[50:51], v[32:33] scope:SCOPE_SYS
	s_clause 0x2
	flat_load_b32 v21, v[8:9] offset:576
	flat_load_b64 v[6:7], v[8:9] offset:600
	flat_load_b64 v[36:37], v[8:9] offset:520
	s_wait_xcnt 0x0
	v_or_b32_e32 v8, 0x100, v30
	s_wait_loadcnt_dscnt 0x101
	v_cmp_eq_u64_e32 vcc_lo, 0, v[6:7]
	s_delay_alu instid0(VALU_DEP_2)
	v_dual_ashrrev_i32 v34, 3, v21 :: v_dual_cndmask_b32 v30, v8, v30, vcc_lo
.LBB4_32:
	s_or_b32 exec_lo, exec_lo, s1
.LBB4_33:
	s_delay_alu instid0(SALU_CYCLE_1) | instskip(NEXT) | instid1(VALU_DEP_1)
	s_or_b32 exec_lo, exec_lo, s0
	v_and_b32_e32 v8, 24, v30
	s_mov_b32 s0, exec_lo
                                        ; implicit-def: $vgpr38_vgpr39
	s_delay_alu instid0(VALU_DEP_1)
	v_cmpx_ne_u32_e32 0, v8
	s_cbranch_execz .LBB4_41
; %bb.34:
	s_trap 2
	ds_load_b64 v[6:7], v20
	v_and_b32_e32 v8, 0xffff, v20
	s_mov_b32 s1, exec_lo
                                        ; implicit-def: $vgpr38_vgpr39
	s_wait_dscnt 0x0
	v_readfirstlane_b32 s2, v6
	v_readfirstlane_b32 s3, v7
	flat_load_b64 v[6:7], v19, s[2:3] scale_offset
	s_wait_xcnt 0x0
	v_or_b32_e32 v19, 0x100, v30
	s_wait_loadcnt_dscnt 0x0
	v_mad_nc_u64_u32 v[22:23], 0xa8, v8, v[6:7]
	flat_load_b128 v[6:9], v[22:23] offset:96
	s_wait_loadcnt_dscnt 0x0
	v_cmp_eq_u64_e32 vcc_lo, 0, v[6:7]
	v_cndmask_b32_e32 v30, v19, v30, vcc_lo
	s_delay_alu instid0(VALU_DEP_1) | instskip(SKIP_1) | instid1(VALU_DEP_1)
	v_and_b32_e32 v19, 16, v30
	s_wait_xcnt 0x0
	v_cmpx_ne_u32_e32 0, v19
	s_cbranch_execz .LBB4_36
; %bb.35:
	s_clause 0x2
	flat_load_b64 v[32:33], v[22:23] offset:48
	flat_load_b64 v[38:39], v[22:23] offset:120
	;; [unrolled: 1-line block ×3, first 2 shown]
.LBB4_36:
	s_wait_xcnt 0x0
	s_or_b32 exec_lo, exec_lo, s1
	v_add_nc_u64_e32 v[114:115], 3, v[8:9]
	v_and_b32_e32 v8, 8, v30
	s_mov_b32 s1, exec_lo
	s_delay_alu instid0(VALU_DEP_2) | instskip(NEXT) | instid1(VALU_DEP_2)
	v_and_b32_e32 v114, -4, v114
	v_cmpx_ne_u32_e32 0, v8
	s_cbranch_execz .LBB4_40
; %bb.37:
	v_and_b32_e32 v8, 0x800, v30
	s_mov_b32 s2, exec_lo
	s_delay_alu instid0(VALU_DEP_1)
	v_cmpx_eq_u32_e32 0, v8
	s_cbranch_execz .LBB4_39
; %bb.38:
	s_trap 2
	ds_store_b64 v8, v[22:23]
.LBB4_39:
	s_or_b32 exec_lo, exec_lo, s2
	s_wait_loadcnt_dscnt 0x202
	flat_load_b64 v[32:33], v[22:23] offset:56
	s_wait_loadcnt_dscnt 0x0
	flat_load_b64 v[50:51], v[32:33] scope:SCOPE_SYS
	s_clause 0x1
	flat_load_b32 v8, v[22:23] offset:72
	flat_load_b64 v[36:37], v[22:23] offset:16
	s_wait_loadcnt_dscnt 0x101
	v_ashrrev_i32_e32 v34, 3, v8
.LBB4_40:
	s_wait_xcnt 0x0
	s_or_b32 exec_lo, exec_lo, s1
.LBB4_41:
	s_delay_alu instid0(SALU_CYCLE_1)
	s_or_b32 exec_lo, exec_lo, s0
	v_cmp_eq_u32_e64 s0, 0, v0
	s_and_saveexec_b32 s1, s0
	s_cbranch_execz .LBB4_43
; %bb.42:
	flat_load_b64 v[8:9], v[2:3] offset:32
	s_wait_dscnt 0x1
	ds_store_2addr_b64 v19, v[12:13], v[10:11] offset1:1
	s_trap 2
	s_wait_loadcnt_dscnt 0x1
	ds_store_b64 v19, v[8:9]
	ds_store_b64 v19, v[16:17]
.LBB4_43:
	s_wait_xcnt 0x0
	s_or_b32 exec_lo, exec_lo, s1
	v_mov_b64_e32 v[48:49], 0
	s_wait_loadcnt 0x0
	v_and_b32_e32 v108, 0xffff, v18
	s_mov_b32 s47, exec_lo
	v_cmpx_lt_i64_e32 0, v[4:5]
	s_cbranch_execz .LBB4_1260
; %bb.44:
	flat_load_b32 v2, v[2:3] offset:4
	v_and_b32_e32 v112, 0x7ffffc0, v14
	s_wait_xcnt 0x0
	v_dual_mov_b32 v113, 0 :: v_dual_bitop2_b32 v3, 31, v31 bitop3:0x40
	s_ashr_i32 s19, s18, 31
	v_dual_ashrrev_i32 v35, 31, v34 :: v_dual_lshrrev_b32 v52, 5, v1
	s_delay_alu instid0(VALU_DEP_2) | instskip(SKIP_2) | instid1(VALU_DEP_3)
	v_mul_u64_e32 v[66:67], s[18:19], v[112:113]
	v_dual_mov_b32 v111, 1 :: v_dual_lshlrev_b32 v8, 3, v1
	s_ashr_i32 s7, s6, 31
	v_dual_mov_b32 v71, v113 :: v_dual_lshlrev_b32 v70, 9, v52
	s_lshr_b32 s7, s7, 29
	s_delay_alu instid0(VALU_DEP_2)
	v_and_b32_e32 v80, 0xff00, v8
	s_add_co_i32 s13, s6, s7
	s_add_co_i32 s56, s18, s18
	s_not_b32 s12, s18
	s_ashr_i32 s13, s13, 6
	v_dual_mov_b32 v87, v113 :: v_dual_add_nc_u32 v96, 0xfffffe00, v70
	s_cmp_gt_i32 s18, 0
	v_add_nc_u32_e32 v98, 0xffffff00, v80
	s_cselect_b32 s12, s12, -1
	s_lshr_b32 s14, s13, 28
	v_dual_lshrrev_b32 v110, 5, v0 :: v_dual_bitop2_b32 v109, 31, v0 bitop3:0x40
	s_add_co_i32 s28, s12, s56
	s_add_co_i32 s13, s13, s14
	s_ashr_i32 s29, s28, 31
	s_ashr_i32 s57, s13, 4
	s_cmp_gt_i32 s18, 2
	v_ashrrev_i32_e32 v99, 31, v98
	v_cmp_eq_u32_e64 s6, 0, v3
	v_dual_lshlrev_b32 v3, 4, v109 :: v_dual_mov_b32 v69, v113
	s_cselect_b32 s58, -1, 0
	s_add_co_i32 s13, s18, 1
	v_cmp_ge_u32_e32 vcc_lo, v0, v1
	v_mov_b64_e32 v[54:55], 0
	s_wait_dscnt 0x2
	v_cmp_eq_u64_e64 s4, 0, v[38:39]
	v_cmp_ne_u64_e64 s5, 0, v[38:39]
	v_mov_b64_e32 v[64:65], 0
	v_mov_b64_e32 v[48:49], 0
	;; [unrolled: 1-line block ×3, first 2 shown]
	v_add_nc_u64_e32 v[102:103], 0x100, v[98:99]
	v_cmp_eq_u32_e64 s1, 32, v1
	v_cmp_ne_u32_e64 s2, 32, v1
	v_cmp_ne_u32_e64 s3, v1, v108
	v_dual_mov_b32 v120, 0x90 :: v_dual_mov_b32 v53, v113
	v_dual_mov_b32 v121, 0x88 :: v_dual_lshlrev_b32 v68, 11, v52
	v_cmp_eq_u32_e64 s7, 0, v109
	v_cmp_lt_u32_e64 s10, v109, v15
	v_dual_mov_b32 v81, v113 :: v_dual_mov_b32 v83, v113
	v_cmp_le_u32_e64 s11, v109, v15
	v_dual_mov_b32 v85, v113 :: v_dual_lshlrev_b32 v84, 10, v52
	v_lshl_or_b32 v82, v110, 10, v3
	v_lshl_or_b32 v86, v110, 11, v3
	s_mov_b32 s21, 0
	s_mov_b64 s[22:23], 0xffffffff
	s_mov_b64 s[24:25], 0x80000000
	s_add_nc_u64 s[26:27], s[18:19], -1
	s_mov_b32 s63, 0
	scratch_store_b64 off, v[22:23], s33 offset:180 ; 8-byte Folded Spill
	s_trap 2
	v_ashrrev_i32_e32 v97, 31, v96
	s_delay_alu instid0(VALU_DEP_1) | instskip(SKIP_2) | instid1(VALU_DEP_1)
	v_add_nc_u64_e32 v[100:101], 0x200, v[96:97]
	s_wait_loadcnt_dscnt 0x0
	v_and_b32_e32 v2, 1, v2
	v_cmp_eq_u32_e64 s12, 1, v2
	s_xor_b32 s59, s12, -1
	s_cmp_ge_i32 s13, s18
	s_cselect_b32 s14, s18, 0
	s_add_co_i32 s60, s18, -2
	s_sub_co_i32 s42, s13, s14
	s_xor_b32 s61, vcc_lo, -1
	s_ashr_i32 s40, s19, 31
	s_sub_co_i32 s62, 0, s18
	s_ashr_i32 s43, s42, 31
	s_branch .LBB4_47
.LBB4_45:                               ;   in Loop: Header=BB4_47 Depth=1
	s_or_b32 exec_lo, exec_lo, s15
.LBB4_46:                               ;   in Loop: Header=BB4_47 Depth=1
	s_delay_alu instid0(SALU_CYCLE_1) | instskip(SKIP_1) | instid1(VALU_DEP_1)
	s_or_b32 exec_lo, exec_lo, s14
	v_add_nc_u64_e32 v[64:65], v[64:65], v[66:67]
	v_cmp_ge_i64_e32 vcc_lo, v[64:65], v[4:5]
	s_or_b32 s63, vcc_lo, s63
	s_delay_alu instid0(SALU_CYCLE_1)
	s_and_not1_b32 exec_lo, exec_lo, s63
	s_cbranch_execz .LBB4_1259
.LBB4_47:                               ; =>This Loop Header: Depth=1
                                        ;     Child Loop BB4_57 Depth 2
                                        ;       Child Loop BB4_65 Depth 3
                                        ;       Child Loop BB4_89 Depth 3
	;; [unrolled: 1-line block ×9, first 2 shown]
                                        ;     Child Loop BB4_199 Depth 2
                                        ;       Child Loop BB4_205 Depth 3
                                        ;       Child Loop BB4_229 Depth 3
	;; [unrolled: 1-line block ×3, first 2 shown]
                                        ;     Child Loop BB4_273 Depth 2
                                        ;       Child Loop BB4_276 Depth 3
                                        ;         Child Loop BB4_284 Depth 4
                                        ;         Child Loop BB4_312 Depth 4
                                        ;         Child Loop BB4_331 Depth 4
                                        ;         Child Loop BB4_357 Depth 4
                                        ;         Child Loop BB4_362 Depth 4
                                        ;         Child Loop BB4_370 Depth 4
                                        ;         Child Loop BB4_375 Depth 4
                                        ;         Child Loop BB4_384 Depth 4
                                        ;         Child Loop BB4_403 Depth 4
                                        ;       Child Loop BB4_422 Depth 3
                                        ;         Child Loop BB4_428 Depth 4
                                        ;         Child Loop BB4_456 Depth 4
	;; [unrolled: 1-line block ×3, first 2 shown]
                                        ;     Child Loop BB4_497 Depth 2
                                        ;       Child Loop BB4_505 Depth 3
                                        ;       Child Loop BB4_533 Depth 3
	;; [unrolled: 1-line block ×5, first 2 shown]
                                        ;         Child Loop BB4_597 Depth 4
                                        ;       Child Loop BB4_611 Depth 3
                                        ;       Child Loop BB4_621 Depth 3
                                        ;         Child Loop BB4_622 Depth 4
                                        ;       Child Loop BB4_642 Depth 3
                                        ;       Child Loop BB4_652 Depth 3
	;; [unrolled: 1-line block ×6, first 2 shown]
                                        ;     Child Loop BB4_722 Depth 2
                                        ;       Child Loop BB4_728 Depth 3
                                        ;       Child Loop BB4_756 Depth 3
	;; [unrolled: 1-line block ×3, first 2 shown]
                                        ;     Child Loop BB4_797 Depth 2
                                        ;       Child Loop BB4_800 Depth 3
                                        ;         Child Loop BB4_808 Depth 4
                                        ;         Child Loop BB4_836 Depth 4
	;; [unrolled: 1-line block ×5, first 2 shown]
                                        ;           Child Loop BB4_888 Depth 5
                                        ;         Child Loop BB4_895 Depth 4
                                        ;         Child Loop BB4_900 Depth 4
                                        ;           Child Loop BB4_901 Depth 5
                                        ;         Child Loop BB4_913 Depth 4
                                        ;         Child Loop BB4_918 Depth 4
	;; [unrolled: 1-line block ×6, first 2 shown]
                                        ;       Child Loop BB4_977 Depth 3
                                        ;         Child Loop BB4_983 Depth 4
                                        ;         Child Loop BB4_1011 Depth 4
	;; [unrolled: 1-line block ×3, first 2 shown]
                                        ;     Child Loop BB4_1055 Depth 2
                                        ;       Child Loop BB4_1063 Depth 3
                                        ;       Child Loop BB4_1087 Depth 3
	;; [unrolled: 1-line block ×9, first 2 shown]
                                        ;     Child Loop BB4_1193 Depth 2
                                        ;       Child Loop BB4_1199 Depth 3
                                        ;       Child Loop BB4_1223 Depth 3
	;; [unrolled: 1-line block ×3, first 2 shown]
	v_sub_nc_u64_e32 v[116:117], v[4:5], v[64:65]
	s_mov_b32 s16, exec_lo
	s_wait_xcnt 0x0
	s_delay_alu instid0(VALU_DEP_1)
	v_cmpx_lt_i64_e64 v[116:117], v[66:67]
	s_cbranch_execz .LBB4_53
; %bb.48:                               ;   in Loop: Header=BB4_47 Depth=1
	v_add_nc_u64_e32 v[8:9], s[26:27], v[116:117]
	s_delay_alu instid0(VALU_DEP_1) | instskip(NEXT) | instid1(VALU_DEP_1)
	v_dual_mov_b32 v10, v113 :: v_dual_bitop2_b32 v11, s19, v9 bitop3:0x54
	v_cmp_ne_u64_e32 vcc_lo, 0, v[10:11]
                                        ; implicit-def: $vgpr10_vgpr11
	s_and_saveexec_b32 s13, vcc_lo
	s_delay_alu instid0(SALU_CYCLE_1)
	s_xor_b32 s17, exec_lo, s13
	s_cbranch_execz .LBB4_50
; %bb.49:                               ;   in Loop: Header=BB4_47 Depth=1
	s_mov_b32 s41, s40
	v_dual_mov_b32 v15, v113 :: v_dual_ashrrev_i32 v10, 31, v9
	s_add_nc_u64 s[14:15], s[18:19], s[40:41]
	s_delay_alu instid0(SALU_CYCLE_1) | instskip(NEXT) | instid1(VALU_DEP_1)
	s_xor_b64 s[14:15], s[14:15], s[40:41]
	v_mov_b32_e32 v11, v10
	s_cvt_f32_u32 s13, s14
	s_cvt_f32_u32 s20, s15
	s_sub_nc_u64 s[72:73], 0, s[14:15]
	s_delay_alu instid0(VALU_DEP_1) | instskip(NEXT) | instid1(SALU_CYCLE_1)
	v_add_nc_u64_e32 v[8:9], v[8:9], v[10:11]
	s_fmamk_f32 s13, s20, 0x4f800000, s13
	s_delay_alu instid0(SALU_CYCLE_3) | instskip(NEXT) | instid1(VALU_DEP_1)
	v_s_rcp_f32 s13, s13
	v_xor_b32_e32 v112, v8, v10
	s_delay_alu instid0(VALU_DEP_2) | instskip(SKIP_1) | instid1(TRANS32_DEP_1)
	v_xor_b32_e32 v14, v9, v10
	v_dual_mov_b32 v19, v113 :: v_dual_bitop2_b32 v10, s40, v10 bitop3:0x14
	s_mul_f32 s13, s13, 0x5f7ffffc
	s_delay_alu instid0(SALU_CYCLE_3) | instskip(NEXT) | instid1(SALU_CYCLE_3)
	s_mul_f32 s20, s13, 0x2f800000
	s_trunc_f32 s20, s20
	s_delay_alu instid0(SALU_CYCLE_3) | instskip(SKIP_1) | instid1(SALU_CYCLE_2)
	s_fmamk_f32 s13, s20, 0xcf800000, s13
	s_cvt_u32_f32 s45, s20
	s_cvt_u32_f32 s44, s13
	s_delay_alu instid0(SALU_CYCLE_3) | instskip(NEXT) | instid1(SALU_CYCLE_1)
	s_mul_u64 s[74:75], s[72:73], s[44:45]
	s_mul_hi_u32 s77, s44, s75
	s_mul_i32 s76, s44, s75
	s_mul_hi_u32 s20, s44, s74
	s_mul_i32 s41, s45, s74
	s_add_nc_u64 s[76:77], s[20:21], s[76:77]
	s_mul_hi_u32 s13, s45, s74
	s_mul_hi_u32 s78, s45, s75
	s_add_co_u32 s20, s76, s41
	s_add_co_ci_u32 s20, s77, s13
	s_mul_i32 s74, s45, s75
	s_add_co_ci_u32 s75, s78, 0
	s_delay_alu instid0(SALU_CYCLE_1) | instskip(NEXT) | instid1(SALU_CYCLE_1)
	s_add_nc_u64 s[74:75], s[20:21], s[74:75]
	s_add_co_u32 s44, s44, s74
	s_cselect_b32 s13, -1, 0
	s_delay_alu instid0(SALU_CYCLE_1) | instskip(SKIP_1) | instid1(SALU_CYCLE_1)
	s_cmp_lg_u32 s13, 0
	s_add_co_ci_u32 s45, s45, s75
	s_mul_u64 s[72:73], s[72:73], s[44:45]
	s_delay_alu instid0(SALU_CYCLE_1)
	s_mul_hi_u32 s75, s44, s73
	s_mul_i32 s74, s44, s73
	s_mul_hi_u32 s20, s44, s72
	s_mul_i32 s41, s45, s72
	s_add_nc_u64 s[74:75], s[20:21], s[74:75]
	s_mul_hi_u32 s13, s45, s72
	s_mul_hi_u32 s76, s45, s73
	s_add_co_u32 s20, s74, s41
	s_add_co_ci_u32 s20, s75, s13
	s_mul_i32 s72, s45, s73
	s_add_co_ci_u32 s73, s76, 0
	s_delay_alu instid0(SALU_CYCLE_1) | instskip(NEXT) | instid1(SALU_CYCLE_1)
	s_add_nc_u64 s[72:73], s[20:21], s[72:73]
	s_add_co_u32 s44, s44, s72
	s_cselect_b32 s13, -1, 0
	v_mul_hi_u32 v18, v112, s44
	s_cmp_lg_u32 s13, 0
	s_add_co_ci_u32 s20, s45, s73
	s_and_b64 s[72:73], s[44:45], s[22:23]
	v_mul_u64_e32 v[12:13], s[20:21], v[112:113]
	v_mul_u64_e32 v[8:9], s[72:73], v[14:15]
	;; [unrolled: 1-line block ×3, first 2 shown]
	s_delay_alu instid0(VALU_DEP_3) | instskip(NEXT) | instid1(VALU_DEP_1)
	v_add_nc_u64_e32 v[12:13], v[18:19], v[12:13]
	v_add_co_u32 v2, vcc_lo, v12, v8
	s_delay_alu instid0(VALU_DEP_2) | instskip(NEXT) | instid1(VALU_DEP_4)
	v_add_co_ci_u32_e32 v18, vcc_lo, v13, v9, vcc_lo
	v_add_co_ci_u32_e32 v17, vcc_lo, 0, v17, vcc_lo
	s_delay_alu instid0(VALU_DEP_1) | instskip(NEXT) | instid1(VALU_DEP_1)
	v_add_nc_u64_e32 v[8:9], v[18:19], v[16:17]
	v_mul_u64_e32 v[12:13], s[14:15], v[8:9]
	s_delay_alu instid0(VALU_DEP_1) | instskip(NEXT) | instid1(VALU_DEP_2)
	v_sub_nc_u32_e32 v2, v14, v13
	v_sub_co_u32 v3, vcc_lo, v112, v12
	s_delay_alu instid0(VALU_DEP_1) | instskip(NEXT) | instid1(VALU_DEP_3)
	v_sub_co_ci_u32_e64 v16, null, v14, v13, vcc_lo
	v_subrev_co_ci_u32_e64 v2, null, s15, v2, vcc_lo
	s_delay_alu instid0(VALU_DEP_3) | instskip(SKIP_1) | instid1(VALU_DEP_3)
	v_sub_co_u32 v11, s13, v3, s14
	v_add_nc_u64_e32 v[14:15], 1, v[8:9]
	v_subrev_co_ci_u32_e64 v2, null, 0, v2, s13
	s_delay_alu instid0(VALU_DEP_3) | instskip(SKIP_1) | instid1(VALU_DEP_3)
	v_cmp_le_u32_e32 vcc_lo, s14, v11
	v_cndmask_b32_e64 v11, 0, -1, vcc_lo
	v_cmp_le_u32_e32 vcc_lo, s15, v2
	v_cndmask_b32_e64 v12, 0, -1, vcc_lo
	;; [unrolled: 2-line block ×4, first 2 shown]
	v_cmp_eq_u32_e32 vcc_lo, s15, v2
	v_cndmask_b32_e32 v2, v12, v11, vcc_lo
	v_cmp_eq_u32_e32 vcc_lo, s15, v16
	v_add_nc_u64_e32 v[12:13], 2, v[8:9]
	v_cndmask_b32_e32 v3, v17, v3, vcc_lo
	s_delay_alu instid0(VALU_DEP_4) | instskip(NEXT) | instid1(VALU_DEP_3)
	v_cmp_ne_u32_e32 vcc_lo, 0, v2
	v_cndmask_b32_e32 v2, v15, v13, vcc_lo
	s_delay_alu instid0(VALU_DEP_3) | instskip(NEXT) | instid1(VALU_DEP_1)
	v_cmp_ne_u32_e64 s13, 0, v3
	v_dual_cndmask_b32 v3, v14, v12, vcc_lo :: v_dual_cndmask_b32 v2, v9, v2, s13
	s_delay_alu instid0(VALU_DEP_1) | instskip(NEXT) | instid1(VALU_DEP_2)
	v_dual_cndmask_b32 v3, v8, v3, s13 :: v_dual_mov_b32 v11, v10
	v_xor_b32_e32 v9, v2, v10
	s_delay_alu instid0(VALU_DEP_2) | instskip(NEXT) | instid1(VALU_DEP_1)
	v_xor_b32_e32 v8, v3, v10
	v_sub_nc_u64_e32 v[10:11], v[8:9], v[10:11]
                                        ; implicit-def: $vgpr8_vgpr9
.LBB4_50:                               ;   in Loop: Header=BB4_47 Depth=1
	s_and_not1_saveexec_b32 s13, s17
	s_cbranch_execz .LBB4_52
; %bb.51:                               ;   in Loop: Header=BB4_47 Depth=1
	v_cvt_f32_u32_e32 v2, s18
	s_delay_alu instid0(VALU_DEP_1) | instskip(SKIP_1) | instid1(TRANS32_DEP_1)
	v_rcp_iflag_f32_e32 v2, v2
	v_nop
	v_mul_f32_e32 v2, 0x4f7ffffe, v2
	s_delay_alu instid0(VALU_DEP_1) | instskip(NEXT) | instid1(VALU_DEP_1)
	v_cvt_u32_f32_e32 v2, v2
	v_mul_lo_u32 v3, s62, v2
	s_delay_alu instid0(VALU_DEP_1) | instskip(NEXT) | instid1(VALU_DEP_1)
	v_mul_hi_u32 v3, v2, v3
	v_add_nc_u32_e32 v2, v2, v3
	s_delay_alu instid0(VALU_DEP_1) | instskip(NEXT) | instid1(VALU_DEP_1)
	v_mul_hi_u32 v2, v8, v2
	v_mul_lo_u32 v3, v2, s18
	s_delay_alu instid0(VALU_DEP_1) | instskip(NEXT) | instid1(VALU_DEP_1)
	v_dual_sub_nc_u32 v3, v8, v3 :: v_dual_add_nc_u32 v8, 1, v2
	v_subrev_nc_u32_e32 v9, s18, v3
	v_cmp_le_u32_e32 vcc_lo, s18, v3
	s_delay_alu instid0(VALU_DEP_2) | instskip(NEXT) | instid1(VALU_DEP_1)
	v_dual_cndmask_b32 v3, v3, v9 :: v_dual_cndmask_b32 v2, v2, v8
	v_cmp_le_u32_e32 vcc_lo, s18, v3
	s_delay_alu instid0(VALU_DEP_2) | instskip(NEXT) | instid1(VALU_DEP_1)
	v_add_nc_u32_e32 v8, 1, v2
	v_cndmask_b32_e32 v112, v2, v8, vcc_lo
	s_delay_alu instid0(VALU_DEP_1)
	v_mov_b64_e32 v[10:11], v[112:113]
.LBB4_52:                               ;   in Loop: Header=BB4_47 Depth=1
	s_or_b32 exec_lo, exec_lo, s13
	s_delay_alu instid0(VALU_DEP_1) | instskip(NEXT) | instid1(VALU_DEP_1)
	v_add_nc_u64_e32 v[26:27], 1, v[10:11]
	v_and_b32_e32 v26, -2, v26
.LBB4_53:                               ;   in Loop: Header=BB4_47 Depth=1
	s_or_b32 exec_lo, exec_lo, s16
	s_delay_alu instid0(VALU_DEP_1) | instskip(SKIP_2) | instid1(VALU_DEP_3)
	v_mul_u64_e32 v[12:13], s[28:29], v[26:27]
	v_add_nc_u64_e32 v[118:119], v[64:65], v[24:25]
	v_mov_b32_e32 v10, 0
	v_sub_nc_u64_e32 v[8:9], v[116:117], v[12:13]
	s_delay_alu instid0(VALU_DEP_1) | instskip(NEXT) | instid1(VALU_DEP_1)
	v_min_i64 v[8:9], v[26:27], v[8:9]
	v_max_i32_e32 v22, 0, v8
	v_cmp_lt_i32_e32 vcc_lo, 0, v8
	s_delay_alu instid0(VALU_DEP_2) | instskip(SKIP_1) | instid1(VALU_DEP_1)
	v_add_nc_u32_e32 v2, 31, v22
	s_and_b32 s13, s61, vcc_lo
	v_lshrrev_b32_e32 v2, 1, v2
	s_delay_alu instid0(VALU_DEP_1) | instskip(NEXT) | instid1(VALU_DEP_1)
	v_and_b32_e32 v3, 0x3ffffff0, v2
	v_dual_mov_b32 v2, 0 :: v_dual_max_i32 v8, s57, v3
	s_and_saveexec_b32 s14, s13
	s_cbranch_execz .LBB4_195
; %bb.54:                               ;   in Loop: Header=BB4_47 Depth=1
	v_mov_b32_e32 v10, 0
	s_mov_b32 s17, 1
	s_mov_b32 s16, -1
	s_mov_b32 s15, 0
	s_branch .LBB4_57
.LBB4_55:                               ;   in Loop: Header=BB4_57 Depth=2
	s_wait_xcnt 0x0
	s_or_b32 exec_lo, exec_lo, s20
	v_add_nc_u64_e32 v[114:115], 2, v[114:115]
	global_wb scope:SCOPE_SYS
	s_wait_storecnt 0x0
	s_wait_loadcnt_dscnt 0x0
	flat_store_b64 v[32:33], v[114:115] scope:SCOPE_SYS
.LBB4_56:                               ;   in Loop: Header=BB4_57 Depth=2
	s_wait_xcnt 0x0
	s_or_b32 exec_lo, exec_lo, s13
	v_dual_add_nc_u32 v10, v8, v10 :: v_dual_mov_b32 v2, s17
	s_xor_b32 s13, s16, -1
	s_mov_b32 s16, 0
	s_mov_b32 s17, 2
	s_delay_alu instid0(VALU_DEP_1) | instskip(SKIP_1) | instid1(SALU_CYCLE_1)
	v_cmp_ge_i32_e32 vcc_lo, v10, v22
	s_or_b32 s13, s13, vcc_lo
	s_and_b32 s13, exec_lo, s13
	s_delay_alu instid0(SALU_CYCLE_1) | instskip(NEXT) | instid1(SALU_CYCLE_1)
	s_or_b32 s15, s13, s15
	s_and_not1_b32 exec_lo, exec_lo, s15
	s_cbranch_execz .LBB4_194
.LBB4_57:                               ;   Parent Loop BB4_47 Depth=1
                                        ; =>  This Loop Header: Depth=2
                                        ;       Child Loop BB4_65 Depth 3
                                        ;       Child Loop BB4_89 Depth 3
	;; [unrolled: 1-line block ×9, first 2 shown]
	s_and_saveexec_b32 s13, s0
	s_cbranch_execz .LBB4_59
; %bb.58:                               ;   in Loop: Header=BB4_57 Depth=2
	s_trap 2
	ds_load_b64 v[14:15], v2
	v_ashrrev_i32_e32 v11, 31, v10
	s_wait_dscnt 0x0
	v_lshl_add_u64 v[14:15], v[118:119], 3, v[14:15]
	s_delay_alu instid0(VALU_DEP_1) | instskip(NEXT) | instid1(VALU_DEP_1)
	v_lshl_add_u64 v[14:15], v[12:13], 3, v[14:15]
	v_lshl_add_u64 v[14:15], v[10:11], 3, v[14:15]
	ds_store_b64 v2, v[14:15]
	ds_store_b64 v2, v[54:55]
.LBB4_59:                               ;   in Loop: Header=BB4_57 Depth=2
	s_or_b32 exec_lo, exec_lo, s13
	v_sub_nc_u32_e32 v2, v22, v10
	v_and_b32_e32 v3, 8, v30
	s_mov_b32 s20, exec_lo
	s_delay_alu instid0(VALU_DEP_2) | instskip(NEXT) | instid1(VALU_DEP_2)
	v_min_i32_e32 v8, v8, v2
	v_cmpx_ne_u32_e32 0, v3
	s_cbranch_execz .LBB4_81
; %bb.60:                               ;   in Loop: Header=BB4_57 Depth=2
	s_wait_loadcnt_dscnt 0x1
	v_add_nc_u64_e32 v[16:17], 8, v[50:51]
	v_add_nc_u64_e32 v[14:15], 2, v[114:115]
	s_mov_b32 s41, exec_lo
	s_delay_alu instid0(VALU_DEP_1)
	v_cmpx_lt_u64_e64 v[16:17], v[14:15]
	s_cbranch_execz .LBB4_72
; %bb.61:                               ;   in Loop: Header=BB4_57 Depth=2
	v_and_b32_e32 v2, 64, v30
	s_mov_b32 s44, 0
	s_mov_b32 s74, 0
                                        ; implicit-def: $sgpr45
                                        ; implicit-def: $sgpr72
                                        ; implicit-def: $sgpr73
	s_delay_alu instid0(VALU_DEP_1)
	v_cmp_eq_u32_e32 vcc_lo, 0, v2
	s_branch .LBB4_65
.LBB4_62:                               ;   in Loop: Header=BB4_65 Depth=3
	s_wait_loadcnt_dscnt 0x0
	v_add_nc_u64_e32 v[16:17], 8, v[50:51]
	s_or_b32 s77, s77, exec_lo
	s_delay_alu instid0(VALU_DEP_1)
	v_cmp_ge_u64_e64 s13, v[16:17], v[14:15]
	s_or_not1_b32 s76, s13, exec_lo
.LBB4_63:                               ;   in Loop: Header=BB4_65 Depth=3
	s_or_b32 exec_lo, exec_lo, s79
	s_delay_alu instid0(SALU_CYCLE_1)
	s_and_not1_b32 s13, s73, exec_lo
	s_and_b32 s73, s77, exec_lo
	s_and_not1_b32 s72, s72, exec_lo
	s_and_b32 s76, s76, exec_lo
	s_or_b32 s73, s13, s73
	s_or_b32 s72, s72, s76
.LBB4_64:                               ;   in Loop: Header=BB4_65 Depth=3
	s_or_b32 exec_lo, exec_lo, s75
	s_delay_alu instid0(SALU_CYCLE_1) | instskip(NEXT) | instid1(SALU_CYCLE_1)
	s_and_b32 s13, exec_lo, s72
	s_or_b32 s44, s13, s44
	s_and_not1_b32 s13, s45, exec_lo
	s_and_b32 s45, s73, exec_lo
	s_delay_alu instid0(SALU_CYCLE_1)
	s_or_b32 s45, s13, s45
	s_and_not1_b32 exec_lo, exec_lo, s44
	s_cbranch_execz .LBB4_69
.LBB4_65:                               ;   Parent Loop BB4_47 Depth=1
                                        ;     Parent Loop BB4_57 Depth=2
                                        ; =>    This Inner Loop Header: Depth=3
	s_sleep 1
	s_wait_loadcnt_dscnt 0x0
	flat_load_b64 v[50:51], v[32:33] scope:SCOPE_SYS
	s_or_b32 s73, s73, exec_lo
	s_or_b32 s72, s72, exec_lo
                                        ; implicit-def: $vgpr2
	s_wait_xcnt 0x0
	s_and_saveexec_b32 s75, vcc_lo
	s_cbranch_execz .LBB4_64
; %bb.66:                               ;   in Loop: Header=BB4_65 Depth=3
	s_cmp_lt_i32 s74, 0x270f
	s_mov_b32 s76, -1
	s_cselect_b32 s78, -1, 0
	s_cmp_gt_i32 s74, 0x270e
	s_cbranch_scc0 .LBB4_68
; %bb.67:                               ;   in Loop: Header=BB4_65 Depth=3
	s_trap 2
	ds_load_b64 v[16:17], v3
	s_and_not1_b32 s74, s78, exec_lo
	s_mov_b32 s77, 0
	s_wait_storecnt 0x0
	s_wait_loadcnt_dscnt 0x0
	flat_load_b32 v2, v[16:17] scope:SCOPE_SYS
	s_wait_loadcnt_dscnt 0x0
	global_inv scope:SCOPE_SYS
	v_cmp_eq_u32_e64 s13, 0, v2
	s_and_b32 s13, s13, exec_lo
	s_delay_alu instid0(SALU_CYCLE_1)
	s_or_b32 s78, s74, s13
	s_mov_b32 s74, 0
	s_and_saveexec_b32 s79, s78
	s_cbranch_execz .LBB4_63
	s_branch .LBB4_62
.LBB4_68:                               ;   in Loop: Header=BB4_65 Depth=3
	s_add_co_i32 s74, s74, 1
	s_mov_b32 s77, -1
                                        ; implicit-def: $vgpr2
	s_and_saveexec_b32 s79, s78
	s_cbranch_execz .LBB4_63
	s_branch .LBB4_62
.LBB4_69:                               ;   in Loop: Header=BB4_57 Depth=2
	s_or_b32 exec_lo, exec_lo, s44
	s_xor_b32 s13, s45, -1
	s_delay_alu instid0(SALU_CYCLE_1) | instskip(NEXT) | instid1(SALU_CYCLE_1)
	s_and_saveexec_b32 s44, s13
	s_xor_b32 s13, exec_lo, s44
	s_cbranch_execz .LBB4_71
; %bb.70:                               ;   in Loop: Header=BB4_57 Depth=2
	v_or_b32_e32 v30, 64, v30
	s_wait_storecnt 0x0
	s_wait_loadcnt_dscnt 0x0
	ds_store_b32 v3, v2
	s_trap 2
.LBB4_71:                               ;   in Loop: Header=BB4_57 Depth=2
	s_or_b32 exec_lo, exec_lo, s13
.LBB4_72:                               ;   in Loop: Header=BB4_57 Depth=2
	s_delay_alu instid0(SALU_CYCLE_1) | instskip(SKIP_4) | instid1(VALU_DEP_1)
	s_or_b32 exec_lo, exec_lo, s41
	v_and_b32_e32 v2, 0x100, v30
	s_mov_b32 s41, 0
	s_mov_b32 s13, exec_lo
	;;#ASMSTART
	s_wakeup
	;;#ASMEND
                                        ; implicit-def: $vgpr16_vgpr17
	v_cmpx_ne_u32_e32 0, v2
	s_xor_b32 s13, exec_lo, s13
	s_cbranch_execz .LBB4_93
; %bb.73:                               ;   in Loop: Header=BB4_57 Depth=2
	v_dual_ashrrev_i32 v9, 31, v8 :: v_dual_bitop2_b32 v112, 7, v114 bitop3:0x40
	s_mov_b32 s41, -1
	s_mov_b32 s44, exec_lo
	s_delay_alu instid0(VALU_DEP_1) | instskip(NEXT) | instid1(VALU_DEP_2)
	v_mad_nc_u64_u32 v[18:19], v112, 24, v[6:7]
	v_lshlrev_b64_e32 v[16:17], 3, v[8:9]
	s_clause 0x1
	flat_load_b32 v2, v[18:19]
	flat_store_b64 v[18:19], v[16:17] offset:8
                                        ; implicit-def: $vgpr16_vgpr17
	s_wait_loadcnt_dscnt 0x1
	v_cmpx_eq_u32_e32 1, v2
	s_cbranch_execz .LBB4_75
; %bb.74:                               ;   in Loop: Header=BB4_57 Depth=2
	flat_load_b32 v16, v[18:19] offset:4 scope:SCOPE_SYS
	s_xor_b32 s41, exec_lo, -1
	s_wait_loadcnt_dscnt 0x0
	v_ashrrev_i32_e32 v17, 31, v16
	s_delay_alu instid0(VALU_DEP_1)
	v_lshrrev_b64 v[16:17], 3, v[16:17]
.LBB4_75:                               ;   in Loop: Header=BB4_57 Depth=2
	s_wait_xcnt 0x0
	s_or_b32 exec_lo, exec_lo, s44
	s_delay_alu instid0(SALU_CYCLE_1)
	s_and_b32 s41, s41, exec_lo
                                        ; implicit-def: $vgpr114_vgpr115
	s_and_not1_saveexec_b32 s13, s13
	s_cbranch_execnz .LBB4_94
.LBB4_76:                               ;   in Loop: Header=BB4_57 Depth=2
	s_or_b32 exec_lo, exec_lo, s13
	s_and_saveexec_b32 s13, s41
.LBB4_77:                               ;   in Loop: Header=BB4_57 Depth=2
	v_mul_u64_e32 v[16:17], v[112:113], v[34:35]
.LBB4_78:                               ;   in Loop: Header=BB4_57 Depth=2
	s_or_b32 exec_lo, exec_lo, s13
	v_and_b32_e32 v2, 0x2000, v30
	s_delay_alu instid0(VALU_DEP_2)
	v_lshl_add_u64 v[16:17], v[16:17], 3, v[36:37]
	s_mov_b32 s13, exec_lo
	ds_store_b64 v0, v[16:17] offset:784
	v_cmpx_ne_u32_e32 0, v2
	s_cbranch_execz .LBB4_80
; %bb.79:                               ;   in Loop: Header=BB4_57 Depth=2
	ds_load_b64 v[16:17], v0 offset:872
	s_wait_dscnt 0x0
	v_add_nc_u64_e32 v[16:17], 1, v[16:17]
	ds_store_b64 v0, v[16:17] offset:872
.LBB4_80:                               ;   in Loop: Header=BB4_57 Depth=2
	s_or_b32 exec_lo, exec_lo, s13
	v_mov_b64_e32 v[114:115], v[14:15]
.LBB4_81:                               ;   in Loop: Header=BB4_57 Depth=2
	s_or_b32 exec_lo, exec_lo, s20
	s_and_saveexec_b32 s13, s2
	s_cbranch_execz .LBB4_102
; %bb.82:                               ;   in Loop: Header=BB4_57 Depth=2
	s_and_saveexec_b32 s20, s3
	s_delay_alu instid0(SALU_CYCLE_1)
	s_xor_b32 s20, exec_lo, s20
	s_cbranch_execz .LBB4_99
; %bb.83:                               ;   in Loop: Header=BB4_57 Depth=2
	s_and_saveexec_b32 s41, s6
	s_cbranch_execz .LBB4_98
; %bb.84:                               ;   in Loop: Header=BB4_57 Depth=2
	s_mov_b32 s45, exec_lo
	s_mov_b32 s44, exec_lo
	v_mbcnt_lo_u32_b32 v2, s45, 0
	global_wb scope:SCOPE_DEV
	s_wait_storecnt 0x0
	s_wait_loadcnt_dscnt 0x0
	global_inv scope:SCOPE_DEV
	v_cmpx_eq_u32_e32 0, v2
	s_cbranch_execz .LBB4_86
; %bb.85:                               ;   in Loop: Header=BB4_57 Depth=2
	s_bcnt1_i32_b32 s45, s45
	s_delay_alu instid0(SALU_CYCLE_1)
	v_mov_b32_e32 v112, s45
	s_wait_loadcnt 0x0
	ds_add_u64 v2, v[112:113]
	s_trap 2
.LBB4_86:                               ;   in Loop: Header=BB4_57 Depth=2
	s_or_b32 exec_lo, exec_lo, s44
	s_trap 2
	ds_load_b64 v[14:15], v2
	s_wait_dscnt 0x0
	v_add_nc_u64_e32 v[48:49], v[48:49], v[52:53]
	s_mov_b32 s44, exec_lo
	s_delay_alu instid0(VALU_DEP_1)
	v_cmpx_lt_u64_e64 v[14:15], v[48:49]
	s_cbranch_execz .LBB4_97
; %bb.87:                               ;   in Loop: Header=BB4_57 Depth=2
	s_mov_b32 s45, 0
	s_mov_b32 s74, 0
                                        ; implicit-def: $sgpr72
                                        ; implicit-def: $sgpr73
	s_branch .LBB4_89
.LBB4_88:                               ;   in Loop: Header=BB4_89 Depth=3
	s_or_b32 exec_lo, exec_lo, s76
	s_delay_alu instid0(SALU_CYCLE_1) | instskip(NEXT) | instid1(SALU_CYCLE_1)
	s_and_b32 s75, exec_lo, s77
	s_or_b32 s45, s75, s45
	s_and_not1_b32 s72, s72, exec_lo
	s_and_b32 s75, s73, exec_lo
	s_delay_alu instid0(SALU_CYCLE_1)
	s_or_b32 s72, s72, s75
	s_and_not1_b32 exec_lo, exec_lo, s45
	s_cbranch_execz .LBB4_95
.LBB4_89:                               ;   Parent Loop BB4_47 Depth=1
                                        ;     Parent Loop BB4_57 Depth=2
                                        ; =>    This Inner Loop Header: Depth=3
	s_add_co_i32 s74, s74, 1
	s_delay_alu instid0(SALU_CYCLE_1) | instskip(SKIP_1) | instid1(SALU_CYCLE_1)
	s_cmp_lg_u32 s74, 0x2710
	s_cselect_b32 s75, -1, 0
	s_and_b32 vcc_lo, exec_lo, s75
	s_cbranch_vccz .LBB4_91
; %bb.90:                               ;   in Loop: Header=BB4_89 Depth=3
	s_mov_b32 s77, -1
	s_or_b32 s73, s73, exec_lo
	s_and_saveexec_b32 s76, s75
	s_cbranch_execz .LBB4_88
	s_branch .LBB4_92
.LBB4_91:                               ;   in Loop: Header=BB4_89 Depth=3
	s_trap 2
	ds_load_b64 v[14:15], v2
	s_and_not1_b32 s75, s75, exec_lo
	s_mov_b32 s74, 0
	s_wait_loadcnt_dscnt 0x0
	flat_load_b32 v2, v[14:15] scope:SCOPE_SYS
	s_wait_loadcnt_dscnt 0x0
	global_inv scope:SCOPE_SYS
	v_cmp_eq_u32_e32 vcc_lo, 0, v2
	s_and_b32 s76, vcc_lo, exec_lo
	s_delay_alu instid0(SALU_CYCLE_1)
	s_or_b32 s75, s75, s76
	s_mov_b32 s77, -1
	s_or_b32 s73, s73, exec_lo
	s_and_saveexec_b32 s76, s75
	s_cbranch_execz .LBB4_88
.LBB4_92:                               ;   in Loop: Header=BB4_89 Depth=3
	s_sleep 1
	s_trap 2
	ds_load_b64 v[14:15], v2
	s_wait_dscnt 0x0
	s_and_not1_b32 s73, s73, exec_lo
	v_cmp_ge_u64_e32 vcc_lo, v[14:15], v[48:49]
	s_or_not1_b32 s77, vcc_lo, exec_lo
	s_branch .LBB4_88
.LBB4_93:                               ;   in Loop: Header=BB4_57 Depth=2
	s_and_not1_saveexec_b32 s13, s13
	s_cbranch_execz .LBB4_76
.LBB4_94:                               ;   in Loop: Header=BB4_57 Depth=2
	v_and_b32_e32 v112, 7, v114
	s_or_b32 s41, s41, exec_lo
	s_or_b32 exec_lo, exec_lo, s13
	s_and_saveexec_b32 s13, s41
	s_cbranch_execnz .LBB4_77
	s_branch .LBB4_78
.LBB4_95:                               ;   in Loop: Header=BB4_57 Depth=2
	s_or_b32 exec_lo, exec_lo, s45
	s_and_saveexec_b32 s45, s72
	s_delay_alu instid0(SALU_CYCLE_1)
	s_xor_b32 s45, exec_lo, s45
	s_cbranch_execz .LBB4_97
; %bb.96:                               ;   in Loop: Header=BB4_57 Depth=2
	ds_store_b32 v2, v111
	s_trap 2
.LBB4_97:                               ;   in Loop: Header=BB4_57 Depth=2
	s_or_b32 exec_lo, exec_lo, s44
	;;#ASMSTART
	s_wakeup
	;;#ASMEND
.LBB4_98:                               ;   in Loop: Header=BB4_57 Depth=2
	s_or_b32 exec_lo, exec_lo, s41
.LBB4_99:                               ;   in Loop: Header=BB4_57 Depth=2
	s_and_not1_saveexec_b32 s20, s20
	s_cbranch_execz .LBB4_101
; %bb.100:                              ;   in Loop: Header=BB4_57 Depth=2
	global_wb scope:SCOPE_DEV
	s_wait_storecnt 0x0
	s_wait_loadcnt_dscnt 0x0
	global_inv scope:SCOPE_DEV
	s_barrier_signal -1
	s_barrier_wait -1
.LBB4_101:                              ;   in Loop: Header=BB4_57 Depth=2
	s_or_b32 exec_lo, exec_lo, s20
.LBB4_102:                              ;   in Loop: Header=BB4_57 Depth=2
	s_delay_alu instid0(SALU_CYCLE_1) | instskip(SKIP_4) | instid1(VALU_DEP_1)
	s_or_b32 exec_lo, exec_lo, s13
	s_trap 2
	ds_load_b32 v9, v2
	v_and_b32_e32 v2, 0x4000, v30
	s_xor_b32 s13, s1, -1
	v_cmp_ne_u32_e32 vcc_lo, 0, v2
	s_and_b32 s20, s13, vcc_lo
	s_delay_alu instid0(SALU_CYCLE_1)
	s_and_saveexec_b32 s13, s20
	s_cbranch_execz .LBB4_121
; %bb.103:                              ;   in Loop: Header=BB4_57 Depth=2
	s_and_saveexec_b32 s20, s3
	s_delay_alu instid0(SALU_CYCLE_1)
	s_xor_b32 s20, exec_lo, s20
	s_cbranch_execz .LBB4_118
; %bb.104:                              ;   in Loop: Header=BB4_57 Depth=2
	s_and_saveexec_b32 s41, s6
	s_cbranch_execz .LBB4_117
; %bb.105:                              ;   in Loop: Header=BB4_57 Depth=2
	s_mov_b32 s45, exec_lo
	s_mov_b32 s44, exec_lo
	v_mbcnt_lo_u32_b32 v2, s45, 0
	global_wb scope:SCOPE_DEV
	s_wait_storecnt 0x0
	s_wait_loadcnt_dscnt 0x0
	global_inv scope:SCOPE_DEV
	v_cmpx_eq_u32_e32 0, v2
	s_cbranch_execz .LBB4_107
; %bb.106:                              ;   in Loop: Header=BB4_57 Depth=2
	s_bcnt1_i32_b32 s45, s45
	s_delay_alu instid0(SALU_CYCLE_1)
	v_mov_b32_e32 v112, s45
	s_wait_loadcnt 0x0
	ds_add_u64 v2, v[112:113]
	s_trap 2
.LBB4_107:                              ;   in Loop: Header=BB4_57 Depth=2
	s_or_b32 exec_lo, exec_lo, s44
	s_trap 2
	ds_load_b64 v[14:15], v2
	s_wait_dscnt 0x0
	v_add_nc_u64_e32 v[48:49], v[48:49], v[52:53]
	s_mov_b32 s44, exec_lo
	s_delay_alu instid0(VALU_DEP_1)
	v_cmpx_lt_u64_e64 v[14:15], v[48:49]
	s_cbranch_execz .LBB4_116
; %bb.108:                              ;   in Loop: Header=BB4_57 Depth=2
	s_mov_b32 s45, 0
	s_mov_b32 s74, 0
                                        ; implicit-def: $sgpr72
                                        ; implicit-def: $sgpr73
	s_branch .LBB4_110
.LBB4_109:                              ;   in Loop: Header=BB4_110 Depth=3
	s_or_b32 exec_lo, exec_lo, s76
	s_delay_alu instid0(SALU_CYCLE_1) | instskip(NEXT) | instid1(SALU_CYCLE_1)
	s_and_b32 s75, exec_lo, s77
	s_or_b32 s45, s75, s45
	s_and_not1_b32 s72, s72, exec_lo
	s_and_b32 s75, s73, exec_lo
	s_delay_alu instid0(SALU_CYCLE_1)
	s_or_b32 s72, s72, s75
	s_and_not1_b32 exec_lo, exec_lo, s45
	s_cbranch_execz .LBB4_114
.LBB4_110:                              ;   Parent Loop BB4_47 Depth=1
                                        ;     Parent Loop BB4_57 Depth=2
                                        ; =>    This Inner Loop Header: Depth=3
	s_add_co_i32 s74, s74, 1
	s_delay_alu instid0(SALU_CYCLE_1) | instskip(SKIP_1) | instid1(SALU_CYCLE_1)
	s_cmp_lg_u32 s74, 0x2710
	s_cselect_b32 s75, -1, 0
	s_and_b32 vcc_lo, exec_lo, s75
	s_cbranch_vccz .LBB4_112
; %bb.111:                              ;   in Loop: Header=BB4_110 Depth=3
	s_mov_b32 s77, -1
	s_or_b32 s73, s73, exec_lo
	s_and_saveexec_b32 s76, s75
	s_cbranch_execz .LBB4_109
	s_branch .LBB4_113
.LBB4_112:                              ;   in Loop: Header=BB4_110 Depth=3
	s_trap 2
	ds_load_b64 v[14:15], v2
	s_and_not1_b32 s75, s75, exec_lo
	s_mov_b32 s74, 0
	s_wait_loadcnt_dscnt 0x0
	flat_load_b32 v2, v[14:15] scope:SCOPE_SYS
	s_wait_loadcnt_dscnt 0x0
	global_inv scope:SCOPE_SYS
	v_cmp_eq_u32_e32 vcc_lo, 0, v2
	s_and_b32 s76, vcc_lo, exec_lo
	s_delay_alu instid0(SALU_CYCLE_1)
	s_or_b32 s75, s75, s76
	s_mov_b32 s77, -1
	s_or_b32 s73, s73, exec_lo
	s_and_saveexec_b32 s76, s75
	s_cbranch_execz .LBB4_109
.LBB4_113:                              ;   in Loop: Header=BB4_110 Depth=3
	s_sleep 1
	s_trap 2
	ds_load_b64 v[14:15], v2
	s_wait_dscnt 0x0
	s_and_not1_b32 s73, s73, exec_lo
	v_cmp_ge_u64_e32 vcc_lo, v[14:15], v[48:49]
	s_or_not1_b32 s77, vcc_lo, exec_lo
	s_branch .LBB4_109
.LBB4_114:                              ;   in Loop: Header=BB4_57 Depth=2
	s_or_b32 exec_lo, exec_lo, s45
	s_and_saveexec_b32 s45, s72
	s_delay_alu instid0(SALU_CYCLE_1)
	s_xor_b32 s45, exec_lo, s45
	s_cbranch_execz .LBB4_116
; %bb.115:                              ;   in Loop: Header=BB4_57 Depth=2
	ds_store_b32 v2, v111
	s_trap 2
.LBB4_116:                              ;   in Loop: Header=BB4_57 Depth=2
	s_or_b32 exec_lo, exec_lo, s44
	;;#ASMSTART
	s_wakeup
	;;#ASMEND
.LBB4_117:                              ;   in Loop: Header=BB4_57 Depth=2
	s_or_b32 exec_lo, exec_lo, s41
.LBB4_118:                              ;   in Loop: Header=BB4_57 Depth=2
	s_and_not1_saveexec_b32 s20, s20
	s_cbranch_execz .LBB4_120
; %bb.119:                              ;   in Loop: Header=BB4_57 Depth=2
	global_wb scope:SCOPE_DEV
	s_wait_storecnt 0x0
	s_wait_loadcnt_dscnt 0x0
	global_inv scope:SCOPE_DEV
	s_barrier_signal -1
	s_barrier_wait -1
.LBB4_120:                              ;   in Loop: Header=BB4_57 Depth=2
	s_or_b32 exec_lo, exec_lo, s20
.LBB4_121:                              ;   in Loop: Header=BB4_57 Depth=2
	s_delay_alu instid0(SALU_CYCLE_1)
	s_or_b32 exec_lo, exec_lo, s13
	s_trap 2
	ds_load_b64 v[14:15], v2
	s_wait_dscnt 0x0
	v_cmp_eq_u64_e32 vcc_lo, 0, v[14:15]
	s_cbranch_vccnz .LBB4_129
; %bb.122:                              ;   in Loop: Header=BB4_57 Depth=2
	s_trap 2
	ds_load_b64 v[16:17], v2
	s_wait_dscnt 0x0
	v_cmp_eq_u64_e32 vcc_lo, 0, v[16:17]
	s_cbranch_vccnz .LBB4_129
; %bb.123:                              ;   in Loop: Header=BB4_57 Depth=2
	s_mov_b32 s13, -1
	s_and_saveexec_b32 s20, s7
	s_cbranch_execz .LBB4_125
; %bb.124:                              ;   in Loop: Header=BB4_57 Depth=2
	ds_load_b32 v2, v0 offset:720
	s_wait_dscnt 0x0
	v_and_b32_e32 v2, 15, v2
	s_delay_alu instid0(VALU_DEP_1)
	v_cmp_eq_u32_e32 vcc_lo, 0, v2
	s_or_not1_b32 s13, vcc_lo, exec_lo
.LBB4_125:                              ;   in Loop: Header=BB4_57 Depth=2
	s_or_b32 exec_lo, exec_lo, s20
	s_and_saveexec_b32 s20, s10
	s_cbranch_execz .LBB4_127
; %bb.126:                              ;   in Loop: Header=BB4_57 Depth=2
	ds_load_b32 v2, v0 offset:784
	s_wait_dscnt 0x0
	v_and_b32_e32 v2, 15, v2
	s_delay_alu instid0(VALU_DEP_1) | instskip(SKIP_3) | instid1(SALU_CYCLE_1)
	v_cmp_eq_u32_e32 vcc_lo, 0, v2
	s_and_b32 s41, s13, vcc_lo
	s_and_not1_b32 s13, s13, exec_lo
	s_and_b32 s41, s41, exec_lo
	s_or_b32 s13, s13, s41
.LBB4_127:                              ;   in Loop: Header=BB4_57 Depth=2
	s_or_b32 exec_lo, exec_lo, s20
	v_cmp_eq_u32_e32 vcc_lo, 0, v9
	s_xor_b32 s13, s13, -1
	s_mov_b32 s41, -1
	v_cndmask_b32_e64 v3, 0, 1, s13
	v_dual_mov_b32 v11, 0 :: v_dual_cndmask_b32 v2, 0, v8
	s_delay_alu instid0(VALU_DEP_2) | instskip(NEXT) | instid1(VALU_DEP_2)
	v_cmp_ne_u32_e32 vcc_lo, 0, v3
	v_lshlrev_b32_e32 v9, 3, v2
	s_cbranch_vccz .LBB4_134
; %bb.128:                              ;   in Loop: Header=BB4_57 Depth=2
	v_mov_b32_e32 v20, v0
	s_and_saveexec_b32 s13, s41
	s_cbranch_execnz .LBB4_145
	s_branch .LBB4_153
.LBB4_129:                              ;   in Loop: Header=BB4_57 Depth=2
	s_mov_b32 s13, 0
	s_and_saveexec_b32 s20, s2
	s_cbranch_execnz .LBB4_154
.LBB4_130:                              ;   in Loop: Header=BB4_57 Depth=2
	s_or_b32 exec_lo, exec_lo, s20
                                        ; implicit-def: $vgpr2
	s_and_saveexec_b32 s20, s12
	s_delay_alu instid0(SALU_CYCLE_1)
	s_xor_b32 s20, exec_lo, s20
	s_cbranch_execz .LBB4_172
.LBB4_131:                              ;   in Loop: Header=BB4_57 Depth=2
	v_and_b32_e32 v2, 16, v30
	s_delay_alu instid0(VALU_DEP_1) | instskip(SKIP_2) | instid1(SALU_CYCLE_1)
	v_cmp_ne_u32_e32 vcc_lo, 0, v2
	v_and_b32_e32 v2, 16, v30
	s_and_b32 s41, vcc_lo, s13
	s_and_saveexec_b32 s13, s41
	s_cbranch_execz .LBB4_133
; %bb.132:                              ;   in Loop: Header=BB4_57 Depth=2
	v_mov_b32_e32 v2, 1
	global_wb scope:SCOPE_SYS
	s_wait_storecnt 0x0
	s_wait_loadcnt_dscnt 0x0
	global_inv scope:SCOPE_SYS
.LBB4_133:                              ;   in Loop: Header=BB4_57 Depth=2
	s_or_b32 exec_lo, exec_lo, s13
	s_and_not1_saveexec_b32 s13, s20
	s_cbranch_execz .LBB4_191
	s_branch .LBB4_173
.LBB4_134:                              ;   in Loop: Header=BB4_57 Depth=2
	s_delay_alu instid0(VALU_DEP_1) | instskip(SKIP_1) | instid1(VALU_DEP_1)
	v_ashrrev_i32_e32 v3, 31, v9
	s_mov_b32 s13, exec_lo
	v_lshrrev_b32_e32 v3, 21, v3
	s_delay_alu instid0(VALU_DEP_1) | instskip(NEXT) | instid1(VALU_DEP_1)
	v_add_nc_u32_e32 v3, v9, v3
	v_ashrrev_i32_e32 v11, 11, v3
	s_delay_alu instid0(VALU_DEP_1) | instskip(NEXT) | instid1(VALU_DEP_1)
	v_sub_nc_u32_e32 v23, v11, v110
	v_cmpx_lt_i32_e32 0, v23
	s_cbranch_execz .LBB4_138
; %bb.135:                              ;   in Loop: Header=BB4_57 Depth=2
	v_mov_b64_e32 v[18:19], v[16:17]
	v_mov_b64_e32 v[20:21], v[14:15]
	s_mov_b32 s20, 0
.LBB4_136:                              ;   Parent Loop BB4_47 Depth=1
                                        ;     Parent Loop BB4_57 Depth=2
                                        ; =>    This Inner Loop Header: Depth=3
	s_delay_alu instid0(VALU_DEP_1) | instskip(SKIP_1) | instid1(VALU_DEP_4)
	v_add_nc_u64_e32 v[60:61], v[86:87], v[20:21]
	v_sub_nc_u32_e32 v23, v23, v52
	v_add_nc_u64_e32 v[72:73], v[86:87], v[18:19]
	v_add_nc_u64_e32 v[20:21], v[20:21], v[68:69]
	;; [unrolled: 1-line block ×3, first 2 shown]
	s_clause 0x3
	global_load_b128 v[40:43], v[60:61], off th:TH_LOAD_NT
	global_load_b128 v[44:47], v[60:61], off offset:512 th:TH_LOAD_NT
	global_load_b128 v[56:59], v[60:61], off offset:1024 th:TH_LOAD_NT
	;; [unrolled: 1-line block ×3, first 2 shown]
	v_cmp_gt_i32_e32 vcc_lo, 1, v23
	s_wait_loadcnt 0x3
	global_store_b128 v[72:73], v[40:43], off th:TH_STORE_NT
	s_wait_loadcnt 0x2
	global_store_b128 v[72:73], v[44:47], off offset:512 th:TH_STORE_NT
	s_wait_loadcnt 0x1
	global_store_b128 v[72:73], v[56:59], off offset:1024 th:TH_STORE_NT
	;; [unrolled: 2-line block ×3, first 2 shown]
	s_or_b32 s20, vcc_lo, s20
	s_wait_xcnt 0x0
	s_and_not1_b32 exec_lo, exec_lo, s20
	s_cbranch_execnz .LBB4_136
; %bb.137:                              ;   in Loop: Header=BB4_57 Depth=2
	s_or_b32 exec_lo, exec_lo, s20
.LBB4_138:                              ;   in Loop: Header=BB4_57 Depth=2
	s_delay_alu instid0(SALU_CYCLE_1) | instskip(SKIP_3) | instid1(VALU_DEP_1)
	s_or_b32 exec_lo, exec_lo, s13
	v_dual_lshlrev_b32 v21, 11, v11 :: v_dual_mov_b32 v11, 0
	s_mov_b32 s41, 0
	s_mov_b32 s20, exec_lo
                                        ; implicit-def: $vgpr20
	v_cmpx_ne_u32_e64 v9, v21
	s_cbranch_execz .LBB4_144
; %bb.139:                              ;   in Loop: Header=BB4_57 Depth=2
	v_dual_lshlrev_b32 v3, 5, v23 :: v_dual_sub_nc_u32 v19, v9, v21
	s_mov_b32 s41, exec_lo
	s_delay_alu instid0(VALU_DEP_1) | instskip(NEXT) | instid1(VALU_DEP_2)
	v_ashrrev_i32_e32 v18, 31, v19
	v_sub_nc_u32_e32 v3, v109, v3
	s_delay_alu instid0(VALU_DEP_1) | instskip(NEXT) | instid1(VALU_DEP_1)
	v_ashrrev_i32_e32 v11, 31, v3
	v_lshrrev_b32_e32 v11, 27, v11
	s_delay_alu instid0(VALU_DEP_1) | instskip(NEXT) | instid1(VALU_DEP_1)
	v_dual_add_nc_u32 v23, v3, v11 :: v_dual_lshrrev_b32 v11, 23, v18
	v_and_b32_e32 v18, 0xffffffe0, v23
	s_delay_alu instid0(VALU_DEP_2) | instskip(NEXT) | instid1(VALU_DEP_2)
	v_add_nc_u32_e32 v28, v19, v11
	v_sub_nc_u32_e32 v20, v3, v18
	s_delay_alu instid0(VALU_DEP_2) | instskip(NEXT) | instid1(VALU_DEP_2)
	v_and_b32_e32 v11, 0xfffffe00, v28
	v_dual_ashrrev_i32 v3, 5, v23 :: v_dual_lshlrev_b32 v18, 4, v20
	s_delay_alu instid0(VALU_DEP_2) | instskip(NEXT) | instid1(VALU_DEP_2)
	v_dual_sub_nc_u32 v23, v19, v11 :: v_dual_ashrrev_i32 v28, 9, v28
	v_lshl_add_u32 v18, v3, 9, v18
	s_delay_alu instid0(VALU_DEP_2) | instskip(NEXT) | instid1(VALU_DEP_2)
	v_cmp_lt_i32_e32 vcc_lo, 15, v23
	v_sub_nc_u32_e32 v41, v19, v18
	s_delay_alu instid0(VALU_DEP_4) | instskip(NEXT) | instid1(VALU_DEP_1)
	v_add_co_ci_u32_e64 v28, null, 0, v28, vcc_lo
	v_sub_nc_u32_e32 v40, v28, v3
	s_delay_alu instid0(VALU_DEP_3)
	v_cmpx_lt_i32_e32 15, v41
	s_cbranch_execz .LBB4_143
; %bb.140:                              ;   in Loop: Header=BB4_57 Depth=2
	v_add_nc_u32_e32 v18, v18, v21
	s_mov_b32 s44, 0
	s_delay_alu instid0(VALU_DEP_1)
	v_ashrrev_i32_e32 v19, 31, v18
.LBB4_141:                              ;   Parent Loop BB4_47 Depth=1
                                        ;     Parent Loop BB4_57 Depth=2
                                        ; =>    This Inner Loop Header: Depth=3
	s_delay_alu instid0(VALU_DEP_1) | instskip(SKIP_3) | instid1(VALU_DEP_3)
	v_add_nc_u64_e32 v[42:43], v[14:15], v[18:19]
	v_dual_sub_nc_u32 v41, v41, v70 :: v_dual_sub_nc_u32 v40, v40, v52
	v_add_nc_u64_e32 v[46:47], v[16:17], v[18:19]
	v_add_nc_u64_e32 v[18:19], v[18:19], v[70:71]
	v_cmp_gt_i32_e64 s13, 16, v41
	global_load_b128 v[42:45], v[42:43], off th:TH_LOAD_NT
	s_or_b32 s44, s13, s44
	s_wait_loadcnt 0x0
	global_store_b128 v[46:47], v[42:45], off th:TH_STORE_NT
	s_wait_xcnt 0x0
	s_and_not1_b32 exec_lo, exec_lo, s44
	s_cbranch_execnz .LBB4_141
; %bb.142:                              ;   in Loop: Header=BB4_57 Depth=2
	s_or_b32 exec_lo, exec_lo, s44
.LBB4_143:                              ;   in Loop: Header=BB4_57 Depth=2
	s_delay_alu instid0(SALU_CYCLE_1) | instskip(NEXT) | instid1(VALU_DEP_2)
	s_or_b32 exec_lo, exec_lo, s41
	v_cmp_lt_i32_e64 s13, 0, v40
	s_delay_alu instid0(VALU_DEP_1) | instskip(NEXT) | instid1(VALU_DEP_1)
	v_dual_cndmask_b32 v19, 0, v52, s13 :: v_dual_bitop2_b32 v3, 8, v9 bitop3:0x40
	v_dual_cndmask_b32 v9, v23, v3 :: v_dual_sub_nc_u32 v18, v23, v3
	s_delay_alu instid0(VALU_DEP_1) | instskip(NEXT) | instid1(VALU_DEP_2)
	v_dual_cndmask_b32 v3, 0, v18 :: v_dual_sub_nc_u32 v18, v19, v40
	v_cmp_ne_u32_e32 vcc_lo, 0, v9
	s_delay_alu instid0(VALU_DEP_2) | instskip(NEXT) | instid1(VALU_DEP_3)
	v_add3_u32 v11, v11, v21, v3
	v_lshl_add_u32 v20, v18, 5, v20
	s_and_b32 s41, vcc_lo, exec_lo
.LBB4_144:                              ;   in Loop: Header=BB4_57 Depth=2
	s_or_b32 exec_lo, exec_lo, s20
	s_and_saveexec_b32 s13, s41
	s_cbranch_execz .LBB4_153
.LBB4_145:                              ;   in Loop: Header=BB4_57 Depth=2
	s_delay_alu instid0(VALU_DEP_1) | instskip(SKIP_1) | instid1(VALU_DEP_1)
	v_dual_ashrrev_i32 v3, 31, v20 :: v_dual_ashrrev_i32 v18, 31, v9
	s_mov_b32 s20, exec_lo
	v_dual_lshrrev_b32 v3, 27, v3 :: v_dual_lshrrev_b32 v19, 23, v18
	s_delay_alu instid0(VALU_DEP_1) | instskip(NEXT) | instid1(VALU_DEP_2)
	v_add_nc_u32_e32 v18, v20, v3
	v_add_nc_u32_e32 v3, v9, v19
	s_delay_alu instid0(VALU_DEP_1) | instskip(NEXT) | instid1(VALU_DEP_1)
	v_dual_ashrrev_i32 v40, 9, v3 :: v_dual_ashrrev_i32 v21, 5, v18
	v_sub_nc_u32_e32 v23, v40, v21
	s_delay_alu instid0(VALU_DEP_1)
	v_cmpx_lt_i32_e32 0, v23
	s_cbranch_execz .LBB4_149
; %bb.146:                              ;   in Loop: Header=BB4_57 Depth=2
	v_and_b32_e32 v3, 0x1fffffe0, v18
	s_mov_b32 s41, 0
	s_delay_alu instid0(VALU_DEP_1) | instskip(NEXT) | instid1(VALU_DEP_1)
	v_dual_lshlrev_b32 v18, 9, v21 :: v_dual_sub_nc_u32 v3, v20, v3
	v_lshlrev_b32_e32 v3, 3, v3
	s_delay_alu instid0(VALU_DEP_1) | instskip(NEXT) | instid1(VALU_DEP_1)
	v_add3_u32 v18, v3, v11, v18
	v_ashrrev_i32_e32 v19, 31, v18
.LBB4_147:                              ;   Parent Loop BB4_47 Depth=1
                                        ;     Parent Loop BB4_57 Depth=2
                                        ; =>    This Inner Loop Header: Depth=3
	s_delay_alu instid0(VALU_DEP_1)
	v_add_nc_u64_e32 v[42:43], v[14:15], v[18:19]
	v_sub_nc_u32_e32 v23, v23, v52
	v_add_nc_u64_e32 v[46:47], v[16:17], v[18:19]
	v_add_nc_u64_e32 v[18:19], v[18:19], v[70:71]
	s_clause 0x1
	flat_load_b64 v[44:45], v[42:43] th:TH_LOAD_NT
	flat_load_b64 v[42:43], v[42:43] offset:256 th:TH_LOAD_NT
	v_cmp_gt_i32_e32 vcc_lo, 1, v23
	s_wait_loadcnt_dscnt 0x101
	flat_store_b64 v[46:47], v[44:45] th:TH_STORE_NT
	s_wait_loadcnt_dscnt 0x1
	flat_store_b64 v[46:47], v[42:43] offset:256 th:TH_STORE_NT
	s_or_b32 s41, vcc_lo, s41
	s_wait_xcnt 0x0
	s_and_not1_b32 exec_lo, exec_lo, s41
	s_cbranch_execnz .LBB4_147
; %bb.148:                              ;   in Loop: Header=BB4_57 Depth=2
	s_or_b32 exec_lo, exec_lo, s41
.LBB4_149:                              ;   in Loop: Header=BB4_57 Depth=2
	s_delay_alu instid0(SALU_CYCLE_1) | instskip(SKIP_1) | instid1(VALU_DEP_1)
	s_or_b32 exec_lo, exec_lo, s20
	v_lshlrev_b32_e32 v18, 9, v40
	v_cmp_ne_u32_e32 vcc_lo, v9, v18
	s_and_b32 exec_lo, exec_lo, vcc_lo
	s_cbranch_execz .LBB4_153
; %bb.150:                              ;   in Loop: Header=BB4_57 Depth=2
	v_dual_lshlrev_b32 v3, 5, v21 :: v_dual_lshlrev_b32 v19, 5, v23
	s_delay_alu instid0(VALU_DEP_1) | instskip(NEXT) | instid1(VALU_DEP_1)
	v_sub_nc_u32_e32 v3, v20, v3
	v_sub_nc_u32_e32 v3, v3, v19
	s_delay_alu instid0(VALU_DEP_1) | instskip(NEXT) | instid1(VALU_DEP_1)
	v_ashrrev_i32_e32 v19, 31, v3
	v_lshrrev_b32_e32 v19, 27, v19
	s_delay_alu instid0(VALU_DEP_1) | instskip(NEXT) | instid1(VALU_DEP_1)
	v_add_nc_u32_e32 v19, v3, v19
	v_and_b32_e32 v20, 0x1fffffe0, v19
	s_delay_alu instid0(VALU_DEP_1) | instskip(NEXT) | instid1(VALU_DEP_1)
	v_dual_lshlrev_b32 v19, 3, v19 :: v_dual_sub_nc_u32 v3, v3, v20
	v_and_b32_e32 v19, 0xffffff00, v19
	s_delay_alu instid0(VALU_DEP_2) | instskip(NEXT) | instid1(VALU_DEP_1)
	v_lshlrev_b32_e32 v3, 3, v3
	v_add3_u32 v18, v19, v3, v18
	s_delay_alu instid0(VALU_DEP_1) | instskip(NEXT) | instid1(VALU_DEP_1)
	v_sub_nc_u32_e32 v9, v9, v18
	v_cmp_lt_i32_e32 vcc_lo, 7, v9
	s_and_b32 exec_lo, exec_lo, vcc_lo
	s_cbranch_execz .LBB4_153
; %bb.151:                              ;   in Loop: Header=BB4_57 Depth=2
	v_add_nc_u32_e32 v18, v18, v11
	s_mov_b32 s20, 0
	s_delay_alu instid0(VALU_DEP_1)
	v_ashrrev_i32_e32 v19, 31, v18
.LBB4_152:                              ;   Parent Loop BB4_47 Depth=1
                                        ;     Parent Loop BB4_57 Depth=2
                                        ; =>    This Inner Loop Header: Depth=3
	s_delay_alu instid0(VALU_DEP_1) | instskip(SKIP_3) | instid1(VALU_DEP_3)
	v_add_nc_u64_e32 v[20:21], v[14:15], v[18:19]
	v_sub_nc_u32_e32 v9, v9, v80
	v_add_nc_u64_e32 v[40:41], v[16:17], v[18:19]
	v_add_nc_u64_e32 v[18:19], v[18:19], v[80:81]
	v_cmp_gt_i32_e32 vcc_lo, 8, v9
	flat_load_b64 v[20:21], v[20:21] th:TH_LOAD_NT
	s_or_b32 s20, vcc_lo, s20
	s_wait_loadcnt_dscnt 0x0
	flat_store_b64 v[40:41], v[20:21] th:TH_STORE_NT
	s_wait_xcnt 0x0
	s_and_not1_b32 exec_lo, exec_lo, s20
	s_cbranch_execnz .LBB4_152
.LBB4_153:                              ;   in Loop: Header=BB4_57 Depth=2
	s_or_b32 exec_lo, exec_lo, s13
	v_cmp_lt_i32_e64 s13, 0, v2
	s_and_saveexec_b32 s20, s2
	s_cbranch_execz .LBB4_130
.LBB4_154:                              ;   in Loop: Header=BB4_57 Depth=2
	s_and_saveexec_b32 s41, s3
	s_delay_alu instid0(SALU_CYCLE_1)
	s_xor_b32 s41, exec_lo, s41
	s_cbranch_execz .LBB4_169
; %bb.155:                              ;   in Loop: Header=BB4_57 Depth=2
	s_and_saveexec_b32 s44, s6
	s_cbranch_execz .LBB4_168
; %bb.156:                              ;   in Loop: Header=BB4_57 Depth=2
	s_mov_b32 s72, exec_lo
	s_mov_b32 s45, exec_lo
	v_mbcnt_lo_u32_b32 v2, s72, 0
	global_wb scope:SCOPE_DEV
	s_wait_storecnt 0x0
	s_wait_loadcnt_dscnt 0x0
	global_inv scope:SCOPE_DEV
	v_cmpx_eq_u32_e32 0, v2
	s_cbranch_execz .LBB4_158
; %bb.157:                              ;   in Loop: Header=BB4_57 Depth=2
	s_bcnt1_i32_b32 s72, s72
	s_delay_alu instid0(SALU_CYCLE_1)
	v_mov_b32_e32 v112, s72
	s_wait_loadcnt 0x0
	ds_add_u64 v2, v[112:113]
	s_trap 2
.LBB4_158:                              ;   in Loop: Header=BB4_57 Depth=2
	s_or_b32 exec_lo, exec_lo, s45
	s_trap 2
	ds_load_b64 v[14:15], v2
	s_wait_dscnt 0x0
	v_add_nc_u64_e32 v[48:49], v[48:49], v[52:53]
	s_mov_b32 s45, exec_lo
	s_delay_alu instid0(VALU_DEP_1)
	v_cmpx_lt_u64_e64 v[14:15], v[48:49]
	s_cbranch_execz .LBB4_167
; %bb.159:                              ;   in Loop: Header=BB4_57 Depth=2
	s_mov_b32 s72, 0
	s_mov_b32 s75, 0
                                        ; implicit-def: $sgpr73
                                        ; implicit-def: $sgpr74
	s_branch .LBB4_161
.LBB4_160:                              ;   in Loop: Header=BB4_161 Depth=3
	s_or_b32 exec_lo, exec_lo, s77
	s_delay_alu instid0(SALU_CYCLE_1) | instskip(NEXT) | instid1(SALU_CYCLE_1)
	s_and_b32 s76, exec_lo, s78
	s_or_b32 s72, s76, s72
	s_and_not1_b32 s73, s73, exec_lo
	s_and_b32 s76, s74, exec_lo
	s_delay_alu instid0(SALU_CYCLE_1)
	s_or_b32 s73, s73, s76
	s_and_not1_b32 exec_lo, exec_lo, s72
	s_cbranch_execz .LBB4_165
.LBB4_161:                              ;   Parent Loop BB4_47 Depth=1
                                        ;     Parent Loop BB4_57 Depth=2
                                        ; =>    This Inner Loop Header: Depth=3
	s_add_co_i32 s75, s75, 1
	s_delay_alu instid0(SALU_CYCLE_1) | instskip(SKIP_1) | instid1(SALU_CYCLE_1)
	s_cmp_lg_u32 s75, 0x2710
	s_cselect_b32 s76, -1, 0
	s_and_b32 vcc_lo, exec_lo, s76
	s_cbranch_vccz .LBB4_163
; %bb.162:                              ;   in Loop: Header=BB4_161 Depth=3
	s_mov_b32 s78, -1
	s_or_b32 s74, s74, exec_lo
	s_and_saveexec_b32 s77, s76
	s_cbranch_execz .LBB4_160
	s_branch .LBB4_164
.LBB4_163:                              ;   in Loop: Header=BB4_161 Depth=3
	s_trap 2
	ds_load_b64 v[14:15], v2
	s_and_not1_b32 s76, s76, exec_lo
	s_mov_b32 s75, 0
	s_wait_loadcnt_dscnt 0x0
	flat_load_b32 v2, v[14:15] scope:SCOPE_SYS
	s_wait_loadcnt_dscnt 0x0
	global_inv scope:SCOPE_SYS
	v_cmp_eq_u32_e32 vcc_lo, 0, v2
	s_and_b32 s77, vcc_lo, exec_lo
	s_delay_alu instid0(SALU_CYCLE_1)
	s_or_b32 s76, s76, s77
	s_mov_b32 s78, -1
	s_or_b32 s74, s74, exec_lo
	s_and_saveexec_b32 s77, s76
	s_cbranch_execz .LBB4_160
.LBB4_164:                              ;   in Loop: Header=BB4_161 Depth=3
	s_sleep 1
	s_trap 2
	ds_load_b64 v[14:15], v2
	s_wait_dscnt 0x0
	s_and_not1_b32 s74, s74, exec_lo
	v_cmp_ge_u64_e32 vcc_lo, v[14:15], v[48:49]
	s_or_not1_b32 s78, vcc_lo, exec_lo
	s_branch .LBB4_160
.LBB4_165:                              ;   in Loop: Header=BB4_57 Depth=2
	s_or_b32 exec_lo, exec_lo, s72
	s_and_saveexec_b32 s72, s73
	s_delay_alu instid0(SALU_CYCLE_1)
	s_xor_b32 s72, exec_lo, s72
	s_cbranch_execz .LBB4_167
; %bb.166:                              ;   in Loop: Header=BB4_57 Depth=2
	ds_store_b32 v2, v111
	s_trap 2
.LBB4_167:                              ;   in Loop: Header=BB4_57 Depth=2
	s_or_b32 exec_lo, exec_lo, s45
	;;#ASMSTART
	s_wakeup
	;;#ASMEND
.LBB4_168:                              ;   in Loop: Header=BB4_57 Depth=2
	s_or_b32 exec_lo, exec_lo, s44
.LBB4_169:                              ;   in Loop: Header=BB4_57 Depth=2
	s_and_not1_saveexec_b32 s41, s41
	s_cbranch_execz .LBB4_171
; %bb.170:                              ;   in Loop: Header=BB4_57 Depth=2
	global_wb scope:SCOPE_DEV
	s_wait_storecnt 0x0
	s_wait_loadcnt_dscnt 0x0
	global_inv scope:SCOPE_DEV
	s_barrier_signal -1
	s_barrier_wait -1
.LBB4_171:                              ;   in Loop: Header=BB4_57 Depth=2
	s_or_b32 exec_lo, exec_lo, s41
	s_delay_alu instid0(SALU_CYCLE_1) | instskip(SKIP_1) | instid1(SALU_CYCLE_1)
	s_or_b32 exec_lo, exec_lo, s20
                                        ; implicit-def: $vgpr2
	s_and_saveexec_b32 s20, s12
	s_xor_b32 s20, exec_lo, s20
	s_cbranch_execnz .LBB4_131
.LBB4_172:                              ;   in Loop: Header=BB4_57 Depth=2
	s_and_not1_saveexec_b32 s13, s20
	s_cbranch_execz .LBB4_191
.LBB4_173:                              ;   in Loop: Header=BB4_57 Depth=2
	s_and_saveexec_b32 s20, s3
	s_delay_alu instid0(SALU_CYCLE_1)
	s_xor_b32 s20, exec_lo, s20
	s_cbranch_execz .LBB4_188
; %bb.174:                              ;   in Loop: Header=BB4_57 Depth=2
	s_and_saveexec_b32 s41, s6
	s_cbranch_execz .LBB4_187
; %bb.175:                              ;   in Loop: Header=BB4_57 Depth=2
	s_mov_b32 s45, exec_lo
	s_mov_b32 s44, exec_lo
	v_mbcnt_lo_u32_b32 v2, s45, 0
	;;#ASMSTART
	s_waitcnt lgkmcnt(0) vmcnt(0)
	;;#ASMEND
	s_delay_alu instid0(VALU_DEP_1)
	v_cmpx_eq_u32_e32 0, v2
	s_cbranch_execz .LBB4_177
; %bb.176:                              ;   in Loop: Header=BB4_57 Depth=2
	s_bcnt1_i32_b32 s45, s45
	s_delay_alu instid0(SALU_CYCLE_1)
	v_mov_b32_e32 v112, s45
	s_wait_storecnt 0x0
	s_wait_loadcnt_dscnt 0x0
	ds_add_u64 v2, v[112:113]
	s_trap 2
.LBB4_177:                              ;   in Loop: Header=BB4_57 Depth=2
	s_or_b32 exec_lo, exec_lo, s44
	s_trap 2
	ds_load_b64 v[14:15], v2
	s_wait_dscnt 0x0
	v_add_nc_u64_e32 v[48:49], v[48:49], v[52:53]
	s_mov_b32 s44, exec_lo
	s_delay_alu instid0(VALU_DEP_1)
	v_cmpx_lt_u64_e64 v[14:15], v[48:49]
	s_cbranch_execz .LBB4_186
; %bb.178:                              ;   in Loop: Header=BB4_57 Depth=2
	s_mov_b32 s45, 0
	s_mov_b32 s74, 0
                                        ; implicit-def: $sgpr72
                                        ; implicit-def: $sgpr73
	s_branch .LBB4_180
.LBB4_179:                              ;   in Loop: Header=BB4_180 Depth=3
	s_or_b32 exec_lo, exec_lo, s76
	s_delay_alu instid0(SALU_CYCLE_1) | instskip(NEXT) | instid1(SALU_CYCLE_1)
	s_and_b32 s75, exec_lo, s77
	s_or_b32 s45, s75, s45
	s_and_not1_b32 s72, s72, exec_lo
	s_and_b32 s75, s73, exec_lo
	s_delay_alu instid0(SALU_CYCLE_1)
	s_or_b32 s72, s72, s75
	s_and_not1_b32 exec_lo, exec_lo, s45
	s_cbranch_execz .LBB4_184
.LBB4_180:                              ;   Parent Loop BB4_47 Depth=1
                                        ;     Parent Loop BB4_57 Depth=2
                                        ; =>    This Inner Loop Header: Depth=3
	s_add_co_i32 s74, s74, 1
	s_delay_alu instid0(SALU_CYCLE_1) | instskip(SKIP_1) | instid1(SALU_CYCLE_1)
	s_cmp_lg_u32 s74, 0x2710
	s_cselect_b32 s75, -1, 0
	s_and_b32 vcc_lo, exec_lo, s75
	s_cbranch_vccz .LBB4_182
; %bb.181:                              ;   in Loop: Header=BB4_180 Depth=3
	s_mov_b32 s77, -1
	s_or_b32 s73, s73, exec_lo
	s_and_saveexec_b32 s76, s75
	s_cbranch_execz .LBB4_179
	s_branch .LBB4_183
.LBB4_182:                              ;   in Loop: Header=BB4_180 Depth=3
	s_trap 2
	ds_load_b64 v[14:15], v2
	s_and_not1_b32 s75, s75, exec_lo
	s_mov_b32 s74, 0
	s_wait_storecnt 0x0
	s_wait_loadcnt_dscnt 0x0
	flat_load_b32 v2, v[14:15] scope:SCOPE_SYS
	s_wait_loadcnt_dscnt 0x0
	global_inv scope:SCOPE_SYS
	v_cmp_eq_u32_e32 vcc_lo, 0, v2
	s_and_b32 s76, vcc_lo, exec_lo
	s_delay_alu instid0(SALU_CYCLE_1)
	s_or_b32 s75, s75, s76
	s_mov_b32 s77, -1
	s_or_b32 s73, s73, exec_lo
	s_and_saveexec_b32 s76, s75
	s_cbranch_execz .LBB4_179
.LBB4_183:                              ;   in Loop: Header=BB4_180 Depth=3
	s_sleep 1
	s_trap 2
	ds_load_b64 v[14:15], v2
	s_wait_dscnt 0x0
	s_and_not1_b32 s73, s73, exec_lo
	v_cmp_ge_u64_e32 vcc_lo, v[14:15], v[48:49]
	s_or_not1_b32 s77, vcc_lo, exec_lo
	s_branch .LBB4_179
.LBB4_184:                              ;   in Loop: Header=BB4_57 Depth=2
	s_or_b32 exec_lo, exec_lo, s45
	s_and_saveexec_b32 s45, s72
	s_delay_alu instid0(SALU_CYCLE_1)
	s_xor_b32 s45, exec_lo, s45
	s_cbranch_execz .LBB4_186
; %bb.185:                              ;   in Loop: Header=BB4_57 Depth=2
	ds_store_b32 v2, v111
	s_trap 2
.LBB4_186:                              ;   in Loop: Header=BB4_57 Depth=2
	s_or_b32 exec_lo, exec_lo, s44
	;;#ASMSTART
	s_wakeup
	;;#ASMEND
.LBB4_187:                              ;   in Loop: Header=BB4_57 Depth=2
	s_or_b32 exec_lo, exec_lo, s41
.LBB4_188:                              ;   in Loop: Header=BB4_57 Depth=2
	s_and_not1_saveexec_b32 s20, s20
	s_cbranch_execz .LBB4_190
; %bb.189:                              ;   in Loop: Header=BB4_57 Depth=2
	;;#ASMSTART
	s_waitcnt lgkmcnt(0) vmcnt(0)
	;;#ASMEND
	s_barrier_signal -1
	s_barrier_wait -1
.LBB4_190:                              ;   in Loop: Header=BB4_57 Depth=2
	s_or_b32 exec_lo, exec_lo, s20
	v_and_b32_e32 v2, 16, v30
.LBB4_191:                              ;   in Loop: Header=BB4_57 Depth=2
	s_or_b32 exec_lo, exec_lo, s13
	s_delay_alu instid0(SALU_CYCLE_1) | instskip(NEXT) | instid1(VALU_DEP_1)
	s_mov_b32 s13, exec_lo
	v_cmpx_ne_u32_e32 0, v2
	s_cbranch_execz .LBB4_56
; %bb.192:                              ;   in Loop: Header=BB4_57 Depth=2
	s_and_saveexec_b32 s20, s5
	s_cbranch_execz .LBB4_55
; %bb.193:                              ;   in Loop: Header=BB4_57 Depth=2
	global_wb scope:SCOPE_SYS
	s_wait_storecnt 0x0
	s_wait_loadcnt_dscnt 0x0
	flat_store_b32 v[38:39], v111 scope:SCOPE_SYS
	s_branch .LBB4_55
.LBB4_194:                              ;   in Loop: Header=BB4_47 Depth=1
	s_or_b32 exec_lo, exec_lo, s15
.LBB4_195:                              ;   in Loop: Header=BB4_47 Depth=1
	s_delay_alu instid0(SALU_CYCLE_1) | instskip(NEXT) | instid1(SALU_CYCLE_1)
	s_or_b32 exec_lo, exec_lo, s14
	s_mov_b32 s14, exec_lo
	v_cmpx_gt_i32_e32 2, v2
	s_cbranch_execz .LBB4_269
; %bb.196:                              ;   in Loop: Header=BB4_47 Depth=1
	v_cmp_eq_u32_e64 s16, 0, v2
	s_mov_b32 s15, 0
	s_branch .LBB4_199
.LBB4_197:                              ;   in Loop: Header=BB4_199 Depth=2
	s_wait_xcnt 0x0
	s_or_b32 exec_lo, exec_lo, s16
	v_add_nc_u64_e32 v[114:115], 2, v[114:115]
	global_wb scope:SCOPE_SYS
	s_wait_storecnt 0x0
	s_wait_loadcnt_dscnt 0x0
	flat_store_b64 v[32:33], v[114:115] scope:SCOPE_SYS
.LBB4_198:                              ;   in Loop: Header=BB4_199 Depth=2
	s_wait_xcnt 0x0
	s_or_b32 exec_lo, exec_lo, s13
	v_add_nc_u32_e32 v10, v8, v10
	s_mov_b32 s16, 0
	s_and_not1_b32 exec_lo, exec_lo, s15
	s_cbranch_execz .LBB4_268
.LBB4_199:                              ;   Parent Loop BB4_47 Depth=1
                                        ; =>  This Loop Header: Depth=2
                                        ;       Child Loop BB4_205 Depth 3
                                        ;       Child Loop BB4_229 Depth 3
                                        ;       Child Loop BB4_254 Depth 3
	s_delay_alu instid0(VALU_DEP_1) | instskip(SKIP_2) | instid1(VALU_DEP_2)
	v_sub_nc_u32_e32 v2, v22, v10
	v_and_b32_e32 v3, 8, v30
	s_mov_b32 s17, exec_lo
	v_min_i32_e32 v8, v8, v2
	s_delay_alu instid0(VALU_DEP_2)
	v_cmpx_ne_u32_e32 0, v3
	s_cbranch_execz .LBB4_221
; %bb.200:                              ;   in Loop: Header=BB4_199 Depth=2
	s_wait_loadcnt_dscnt 0x1
	v_add_nc_u64_e32 v[14:15], 8, v[50:51]
	v_add_nc_u64_e32 v[12:13], 2, v[114:115]
	s_mov_b32 s20, exec_lo
	s_delay_alu instid0(VALU_DEP_1)
	v_cmpx_lt_u64_e64 v[14:15], v[12:13]
	s_cbranch_execz .LBB4_212
; %bb.201:                              ;   in Loop: Header=BB4_199 Depth=2
	v_and_b32_e32 v2, 64, v30
	s_mov_b32 s41, 0
	s_mov_b32 s73, 0
                                        ; implicit-def: $sgpr44
                                        ; implicit-def: $sgpr45
                                        ; implicit-def: $sgpr72
	s_delay_alu instid0(VALU_DEP_1)
	v_cmp_eq_u32_e32 vcc_lo, 0, v2
	s_branch .LBB4_205
.LBB4_202:                              ;   in Loop: Header=BB4_205 Depth=3
	s_wait_loadcnt_dscnt 0x0
	v_add_nc_u64_e32 v[14:15], 8, v[50:51]
	s_or_b32 s76, s76, exec_lo
	s_delay_alu instid0(VALU_DEP_1)
	v_cmp_ge_u64_e64 s13, v[14:15], v[12:13]
	s_or_not1_b32 s75, s13, exec_lo
.LBB4_203:                              ;   in Loop: Header=BB4_205 Depth=3
	s_or_b32 exec_lo, exec_lo, s78
	s_delay_alu instid0(SALU_CYCLE_1)
	s_and_not1_b32 s13, s72, exec_lo
	s_and_b32 s72, s76, exec_lo
	s_and_not1_b32 s45, s45, exec_lo
	s_and_b32 s75, s75, exec_lo
	s_or_b32 s72, s13, s72
	s_or_b32 s45, s45, s75
.LBB4_204:                              ;   in Loop: Header=BB4_205 Depth=3
	s_or_b32 exec_lo, exec_lo, s74
	s_delay_alu instid0(SALU_CYCLE_1) | instskip(NEXT) | instid1(SALU_CYCLE_1)
	s_and_b32 s13, exec_lo, s45
	s_or_b32 s41, s13, s41
	s_and_not1_b32 s13, s44, exec_lo
	s_and_b32 s44, s72, exec_lo
	s_delay_alu instid0(SALU_CYCLE_1)
	s_or_b32 s44, s13, s44
	s_and_not1_b32 exec_lo, exec_lo, s41
	s_cbranch_execz .LBB4_209
.LBB4_205:                              ;   Parent Loop BB4_47 Depth=1
                                        ;     Parent Loop BB4_199 Depth=2
                                        ; =>    This Inner Loop Header: Depth=3
	s_sleep 1
	s_wait_loadcnt_dscnt 0x0
	flat_load_b64 v[50:51], v[32:33] scope:SCOPE_SYS
	s_or_b32 s72, s72, exec_lo
	s_or_b32 s45, s45, exec_lo
                                        ; implicit-def: $vgpr2
	s_wait_xcnt 0x0
	s_and_saveexec_b32 s74, vcc_lo
	s_cbranch_execz .LBB4_204
; %bb.206:                              ;   in Loop: Header=BB4_205 Depth=3
	s_cmp_lt_i32 s73, 0x270f
	s_mov_b32 s75, -1
	s_cselect_b32 s77, -1, 0
	s_cmp_gt_i32 s73, 0x270e
	s_cbranch_scc0 .LBB4_208
; %bb.207:                              ;   in Loop: Header=BB4_205 Depth=3
	s_trap 2
	ds_load_b64 v[14:15], v3
	s_and_not1_b32 s73, s77, exec_lo
	s_mov_b32 s76, 0
	s_wait_storecnt 0x0
	s_wait_loadcnt_dscnt 0x0
	flat_load_b32 v2, v[14:15] scope:SCOPE_SYS
	s_wait_loadcnt_dscnt 0x0
	global_inv scope:SCOPE_SYS
	v_cmp_eq_u32_e64 s13, 0, v2
	s_and_b32 s13, s13, exec_lo
	s_delay_alu instid0(SALU_CYCLE_1)
	s_or_b32 s77, s73, s13
	s_mov_b32 s73, 0
	s_and_saveexec_b32 s78, s77
	s_cbranch_execz .LBB4_203
	s_branch .LBB4_202
.LBB4_208:                              ;   in Loop: Header=BB4_205 Depth=3
	s_add_co_i32 s73, s73, 1
	s_mov_b32 s76, -1
                                        ; implicit-def: $vgpr2
	s_and_saveexec_b32 s78, s77
	s_cbranch_execz .LBB4_203
	s_branch .LBB4_202
.LBB4_209:                              ;   in Loop: Header=BB4_199 Depth=2
	s_or_b32 exec_lo, exec_lo, s41
	s_xor_b32 s13, s44, -1
	s_delay_alu instid0(SALU_CYCLE_1) | instskip(NEXT) | instid1(SALU_CYCLE_1)
	s_and_saveexec_b32 s41, s13
	s_xor_b32 s13, exec_lo, s41
	s_cbranch_execz .LBB4_211
; %bb.210:                              ;   in Loop: Header=BB4_199 Depth=2
	v_or_b32_e32 v30, 64, v30
	s_wait_storecnt 0x0
	s_wait_loadcnt_dscnt 0x0
	ds_store_b32 v3, v2
	s_trap 2
.LBB4_211:                              ;   in Loop: Header=BB4_199 Depth=2
	s_or_b32 exec_lo, exec_lo, s13
.LBB4_212:                              ;   in Loop: Header=BB4_199 Depth=2
	s_delay_alu instid0(SALU_CYCLE_1) | instskip(SKIP_4) | instid1(VALU_DEP_1)
	s_or_b32 exec_lo, exec_lo, s20
	v_and_b32_e32 v2, 0x100, v30
	s_mov_b32 s20, 0
	s_mov_b32 s13, exec_lo
	;;#ASMSTART
	s_wakeup
	;;#ASMEND
                                        ; implicit-def: $vgpr14_vgpr15
	v_cmpx_ne_u32_e32 0, v2
	s_xor_b32 s13, exec_lo, s13
	s_cbranch_execz .LBB4_233
; %bb.213:                              ;   in Loop: Header=BB4_199 Depth=2
	v_dual_ashrrev_i32 v9, 31, v8 :: v_dual_bitop2_b32 v112, 7, v114 bitop3:0x40
	s_mov_b32 s20, -1
	s_mov_b32 s41, exec_lo
	s_delay_alu instid0(VALU_DEP_1) | instskip(NEXT) | instid1(VALU_DEP_2)
	v_mad_nc_u64_u32 v[16:17], v112, 24, v[6:7]
	v_lshlrev_b64_e32 v[14:15], 3, v[8:9]
	s_clause 0x1
	flat_load_b32 v2, v[16:17]
	flat_store_b64 v[16:17], v[14:15] offset:8
                                        ; implicit-def: $vgpr14_vgpr15
	s_wait_loadcnt_dscnt 0x1
	v_cmpx_eq_u32_e32 1, v2
	s_cbranch_execz .LBB4_215
; %bb.214:                              ;   in Loop: Header=BB4_199 Depth=2
	flat_load_b32 v14, v[16:17] offset:4 scope:SCOPE_SYS
	s_xor_b32 s20, exec_lo, -1
	s_wait_loadcnt_dscnt 0x0
	v_ashrrev_i32_e32 v15, 31, v14
	s_delay_alu instid0(VALU_DEP_1)
	v_lshrrev_b64 v[14:15], 3, v[14:15]
.LBB4_215:                              ;   in Loop: Header=BB4_199 Depth=2
	s_wait_xcnt 0x0
	s_or_b32 exec_lo, exec_lo, s41
	s_delay_alu instid0(SALU_CYCLE_1)
	s_and_b32 s20, s20, exec_lo
                                        ; implicit-def: $vgpr114_vgpr115
	s_and_not1_saveexec_b32 s13, s13
	s_cbranch_execnz .LBB4_234
.LBB4_216:                              ;   in Loop: Header=BB4_199 Depth=2
	s_or_b32 exec_lo, exec_lo, s13
	s_and_saveexec_b32 s13, s20
.LBB4_217:                              ;   in Loop: Header=BB4_199 Depth=2
	v_mul_u64_e32 v[14:15], v[112:113], v[34:35]
.LBB4_218:                              ;   in Loop: Header=BB4_199 Depth=2
	s_or_b32 exec_lo, exec_lo, s13
	v_and_b32_e32 v2, 0x2000, v30
	s_delay_alu instid0(VALU_DEP_2)
	v_lshl_add_u64 v[14:15], v[14:15], 3, v[36:37]
	s_mov_b32 s13, exec_lo
	ds_store_b64 v0, v[14:15] offset:784
	v_cmpx_ne_u32_e32 0, v2
	s_cbranch_execz .LBB4_220
; %bb.219:                              ;   in Loop: Header=BB4_199 Depth=2
	ds_load_b64 v[14:15], v0 offset:872
	s_wait_dscnt 0x0
	v_add_nc_u64_e32 v[14:15], 1, v[14:15]
	ds_store_b64 v0, v[14:15] offset:872
.LBB4_220:                              ;   in Loop: Header=BB4_199 Depth=2
	s_or_b32 exec_lo, exec_lo, s13
	v_mov_b64_e32 v[114:115], v[12:13]
.LBB4_221:                              ;   in Loop: Header=BB4_199 Depth=2
	s_or_b32 exec_lo, exec_lo, s17
	s_xor_b32 s13, s16, -1
	s_delay_alu instid0(SALU_CYCLE_1) | instskip(NEXT) | instid1(SALU_CYCLE_1)
	s_and_b32 s13, exec_lo, s13
	s_or_b32 s15, s13, s15
	s_and_saveexec_b32 s13, s2
	s_cbranch_execz .LBB4_242
; %bb.222:                              ;   in Loop: Header=BB4_199 Depth=2
	s_and_saveexec_b32 s16, s3
	s_delay_alu instid0(SALU_CYCLE_1)
	s_xor_b32 s16, exec_lo, s16
	s_cbranch_execz .LBB4_239
; %bb.223:                              ;   in Loop: Header=BB4_199 Depth=2
	s_and_saveexec_b32 s17, s6
	s_cbranch_execz .LBB4_238
; %bb.224:                              ;   in Loop: Header=BB4_199 Depth=2
	s_mov_b32 s41, exec_lo
	s_mov_b32 s20, exec_lo
	v_mbcnt_lo_u32_b32 v2, s41, 0
	global_wb scope:SCOPE_DEV
	s_wait_storecnt 0x0
	s_wait_loadcnt_dscnt 0x0
	global_inv scope:SCOPE_DEV
	v_cmpx_eq_u32_e32 0, v2
	s_cbranch_execz .LBB4_226
; %bb.225:                              ;   in Loop: Header=BB4_199 Depth=2
	s_bcnt1_i32_b32 s41, s41
	s_delay_alu instid0(SALU_CYCLE_1)
	v_mov_b32_e32 v112, s41
	s_wait_loadcnt 0x0
	ds_add_u64 v2, v[112:113]
	s_trap 2
.LBB4_226:                              ;   in Loop: Header=BB4_199 Depth=2
	s_or_b32 exec_lo, exec_lo, s20
	s_trap 2
	ds_load_b64 v[12:13], v2
	s_wait_dscnt 0x0
	v_add_nc_u64_e32 v[48:49], v[48:49], v[52:53]
	s_mov_b32 s20, exec_lo
	s_delay_alu instid0(VALU_DEP_1)
	v_cmpx_lt_u64_e64 v[12:13], v[48:49]
	s_cbranch_execz .LBB4_237
; %bb.227:                              ;   in Loop: Header=BB4_199 Depth=2
	s_mov_b32 s41, 0
	s_mov_b32 s72, 0
                                        ; implicit-def: $sgpr44
                                        ; implicit-def: $sgpr45
	s_branch .LBB4_229
.LBB4_228:                              ;   in Loop: Header=BB4_229 Depth=3
	s_or_b32 exec_lo, exec_lo, s74
	s_delay_alu instid0(SALU_CYCLE_1) | instskip(NEXT) | instid1(SALU_CYCLE_1)
	s_and_b32 s73, exec_lo, s75
	s_or_b32 s41, s73, s41
	s_and_not1_b32 s44, s44, exec_lo
	s_and_b32 s73, s45, exec_lo
	s_delay_alu instid0(SALU_CYCLE_1)
	s_or_b32 s44, s44, s73
	s_and_not1_b32 exec_lo, exec_lo, s41
	s_cbranch_execz .LBB4_235
.LBB4_229:                              ;   Parent Loop BB4_47 Depth=1
                                        ;     Parent Loop BB4_199 Depth=2
                                        ; =>    This Inner Loop Header: Depth=3
	s_add_co_i32 s72, s72, 1
	s_delay_alu instid0(SALU_CYCLE_1) | instskip(SKIP_1) | instid1(SALU_CYCLE_1)
	s_cmp_lg_u32 s72, 0x2710
	s_cselect_b32 s73, -1, 0
	s_and_b32 vcc_lo, exec_lo, s73
	s_cbranch_vccz .LBB4_231
; %bb.230:                              ;   in Loop: Header=BB4_229 Depth=3
	s_mov_b32 s75, -1
	s_or_b32 s45, s45, exec_lo
	s_and_saveexec_b32 s74, s73
	s_cbranch_execz .LBB4_228
	s_branch .LBB4_232
.LBB4_231:                              ;   in Loop: Header=BB4_229 Depth=3
	s_trap 2
	ds_load_b64 v[12:13], v2
	s_and_not1_b32 s73, s73, exec_lo
	s_mov_b32 s72, 0
	s_wait_loadcnt_dscnt 0x0
	flat_load_b32 v2, v[12:13] scope:SCOPE_SYS
	s_wait_loadcnt_dscnt 0x0
	global_inv scope:SCOPE_SYS
	v_cmp_eq_u32_e32 vcc_lo, 0, v2
	s_and_b32 s74, vcc_lo, exec_lo
	s_delay_alu instid0(SALU_CYCLE_1)
	s_or_b32 s73, s73, s74
	s_mov_b32 s75, -1
	s_or_b32 s45, s45, exec_lo
	s_and_saveexec_b32 s74, s73
	s_cbranch_execz .LBB4_228
.LBB4_232:                              ;   in Loop: Header=BB4_229 Depth=3
	s_sleep 1
	s_trap 2
	ds_load_b64 v[12:13], v2
	s_wait_dscnt 0x0
	s_and_not1_b32 s45, s45, exec_lo
	v_cmp_ge_u64_e32 vcc_lo, v[12:13], v[48:49]
	s_or_not1_b32 s75, vcc_lo, exec_lo
	s_branch .LBB4_228
.LBB4_233:                              ;   in Loop: Header=BB4_199 Depth=2
	s_and_not1_saveexec_b32 s13, s13
	s_cbranch_execz .LBB4_216
.LBB4_234:                              ;   in Loop: Header=BB4_199 Depth=2
	v_and_b32_e32 v112, 7, v114
	s_or_b32 s20, s20, exec_lo
	s_or_b32 exec_lo, exec_lo, s13
	s_and_saveexec_b32 s13, s20
	s_cbranch_execnz .LBB4_217
	s_branch .LBB4_218
.LBB4_235:                              ;   in Loop: Header=BB4_199 Depth=2
	s_or_b32 exec_lo, exec_lo, s41
	s_and_saveexec_b32 s41, s44
	s_delay_alu instid0(SALU_CYCLE_1)
	s_xor_b32 s41, exec_lo, s41
	s_cbranch_execz .LBB4_237
; %bb.236:                              ;   in Loop: Header=BB4_199 Depth=2
	ds_store_b32 v2, v111
	s_trap 2
.LBB4_237:                              ;   in Loop: Header=BB4_199 Depth=2
	s_or_b32 exec_lo, exec_lo, s20
	;;#ASMSTART
	s_wakeup
	;;#ASMEND
.LBB4_238:                              ;   in Loop: Header=BB4_199 Depth=2
	s_or_b32 exec_lo, exec_lo, s17
.LBB4_239:                              ;   in Loop: Header=BB4_199 Depth=2
	s_and_not1_saveexec_b32 s16, s16
	s_cbranch_execz .LBB4_241
; %bb.240:                              ;   in Loop: Header=BB4_199 Depth=2
	global_wb scope:SCOPE_DEV
	s_wait_storecnt 0x0
	s_wait_loadcnt_dscnt 0x0
	global_inv scope:SCOPE_DEV
	s_barrier_signal -1
	s_barrier_wait -1
.LBB4_241:                              ;   in Loop: Header=BB4_199 Depth=2
	s_or_b32 exec_lo, exec_lo, s16
.LBB4_242:                              ;   in Loop: Header=BB4_199 Depth=2
	s_delay_alu instid0(SALU_CYCLE_1) | instskip(SKIP_1) | instid1(SALU_CYCLE_1)
	s_or_b32 exec_lo, exec_lo, s13
                                        ; implicit-def: $vgpr2
	s_and_saveexec_b32 s13, s12
	s_xor_b32 s16, exec_lo, s13
	s_cbranch_execz .LBB4_246
; %bb.243:                              ;   in Loop: Header=BB4_199 Depth=2
	s_trap 2
	ds_load_b32 v2, v3
	v_cmp_lt_i32_e32 vcc_lo, 0, v8
	s_wait_dscnt 0x0
	v_readfirstlane_b32 s13, v2
	v_and_b32_e32 v2, 16, v30
	s_cmp_eq_u32 s13, 0
	s_delay_alu instid0(VALU_DEP_1) | instskip(SKIP_3) | instid1(SALU_CYCLE_1)
	v_cmp_ne_u32_e64 s13, 0, v2
	s_cselect_b32 s17, -1, 0
	v_and_b32_e32 v2, 16, v30
	s_and_b32 s17, vcc_lo, s17
	s_and_b32 s17, s13, s17
	s_delay_alu instid0(SALU_CYCLE_1)
	s_and_saveexec_b32 s13, s17
	s_cbranch_execz .LBB4_245
; %bb.244:                              ;   in Loop: Header=BB4_199 Depth=2
	v_mov_b32_e32 v2, 1
	global_wb scope:SCOPE_SYS
	s_wait_loadcnt 0x0
	s_wait_storecnt 0x0
	global_inv scope:SCOPE_SYS
.LBB4_245:                              ;   in Loop: Header=BB4_199 Depth=2
	s_or_b32 exec_lo, exec_lo, s13
	s_and_not1_saveexec_b32 s13, s16
	s_cbranch_execz .LBB4_265
	s_branch .LBB4_247
.LBB4_246:                              ;   in Loop: Header=BB4_199 Depth=2
	s_and_not1_saveexec_b32 s13, s16
	s_cbranch_execz .LBB4_265
.LBB4_247:                              ;   in Loop: Header=BB4_199 Depth=2
	s_and_saveexec_b32 s16, s3
	s_delay_alu instid0(SALU_CYCLE_1)
	s_xor_b32 s16, exec_lo, s16
	s_cbranch_execz .LBB4_262
; %bb.248:                              ;   in Loop: Header=BB4_199 Depth=2
	s_and_saveexec_b32 s17, s6
	s_cbranch_execz .LBB4_261
; %bb.249:                              ;   in Loop: Header=BB4_199 Depth=2
	s_mov_b32 s41, exec_lo
	s_mov_b32 s20, exec_lo
	v_mbcnt_lo_u32_b32 v2, s41, 0
	;;#ASMSTART
	s_waitcnt lgkmcnt(0) vmcnt(0)
	;;#ASMEND
	s_delay_alu instid0(VALU_DEP_1)
	v_cmpx_eq_u32_e32 0, v2
	s_cbranch_execz .LBB4_251
; %bb.250:                              ;   in Loop: Header=BB4_199 Depth=2
	s_bcnt1_i32_b32 s41, s41
	s_delay_alu instid0(SALU_CYCLE_1)
	v_mov_b32_e32 v112, s41
	s_wait_storecnt 0x0
	s_wait_loadcnt_dscnt 0x0
	ds_add_u64 v2, v[112:113]
	s_trap 2
.LBB4_251:                              ;   in Loop: Header=BB4_199 Depth=2
	s_or_b32 exec_lo, exec_lo, s20
	s_trap 2
	ds_load_b64 v[12:13], v2
	s_wait_dscnt 0x0
	v_add_nc_u64_e32 v[48:49], v[48:49], v[52:53]
	s_mov_b32 s20, exec_lo
	s_delay_alu instid0(VALU_DEP_1)
	v_cmpx_lt_u64_e64 v[12:13], v[48:49]
	s_cbranch_execz .LBB4_260
; %bb.252:                              ;   in Loop: Header=BB4_199 Depth=2
	s_mov_b32 s41, 0
	s_mov_b32 s72, 0
                                        ; implicit-def: $sgpr44
                                        ; implicit-def: $sgpr45
	s_branch .LBB4_254
.LBB4_253:                              ;   in Loop: Header=BB4_254 Depth=3
	s_or_b32 exec_lo, exec_lo, s74
	s_delay_alu instid0(SALU_CYCLE_1) | instskip(NEXT) | instid1(SALU_CYCLE_1)
	s_and_b32 s73, exec_lo, s75
	s_or_b32 s41, s73, s41
	s_and_not1_b32 s44, s44, exec_lo
	s_and_b32 s73, s45, exec_lo
	s_delay_alu instid0(SALU_CYCLE_1)
	s_or_b32 s44, s44, s73
	s_and_not1_b32 exec_lo, exec_lo, s41
	s_cbranch_execz .LBB4_258
.LBB4_254:                              ;   Parent Loop BB4_47 Depth=1
                                        ;     Parent Loop BB4_199 Depth=2
                                        ; =>    This Inner Loop Header: Depth=3
	s_add_co_i32 s72, s72, 1
	s_delay_alu instid0(SALU_CYCLE_1) | instskip(SKIP_1) | instid1(SALU_CYCLE_1)
	s_cmp_lg_u32 s72, 0x2710
	s_cselect_b32 s73, -1, 0
	s_and_b32 vcc_lo, exec_lo, s73
	s_cbranch_vccz .LBB4_256
; %bb.255:                              ;   in Loop: Header=BB4_254 Depth=3
	s_mov_b32 s75, -1
	s_or_b32 s45, s45, exec_lo
	s_and_saveexec_b32 s74, s73
	s_cbranch_execz .LBB4_253
	s_branch .LBB4_257
.LBB4_256:                              ;   in Loop: Header=BB4_254 Depth=3
	s_trap 2
	ds_load_b64 v[12:13], v2
	s_and_not1_b32 s73, s73, exec_lo
	s_mov_b32 s72, 0
	s_wait_storecnt 0x0
	s_wait_loadcnt_dscnt 0x0
	flat_load_b32 v2, v[12:13] scope:SCOPE_SYS
	s_wait_loadcnt_dscnt 0x0
	global_inv scope:SCOPE_SYS
	v_cmp_eq_u32_e32 vcc_lo, 0, v2
	s_and_b32 s74, vcc_lo, exec_lo
	s_delay_alu instid0(SALU_CYCLE_1)
	s_or_b32 s73, s73, s74
	s_mov_b32 s75, -1
	s_or_b32 s45, s45, exec_lo
	s_and_saveexec_b32 s74, s73
	s_cbranch_execz .LBB4_253
.LBB4_257:                              ;   in Loop: Header=BB4_254 Depth=3
	s_sleep 1
	s_trap 2
	ds_load_b64 v[12:13], v2
	s_wait_dscnt 0x0
	s_and_not1_b32 s45, s45, exec_lo
	v_cmp_ge_u64_e32 vcc_lo, v[12:13], v[48:49]
	s_or_not1_b32 s75, vcc_lo, exec_lo
	s_branch .LBB4_253
.LBB4_258:                              ;   in Loop: Header=BB4_199 Depth=2
	s_or_b32 exec_lo, exec_lo, s41
	s_and_saveexec_b32 s41, s44
	s_delay_alu instid0(SALU_CYCLE_1)
	s_xor_b32 s41, exec_lo, s41
	s_cbranch_execz .LBB4_260
; %bb.259:                              ;   in Loop: Header=BB4_199 Depth=2
	ds_store_b32 v2, v111
	s_trap 2
.LBB4_260:                              ;   in Loop: Header=BB4_199 Depth=2
	s_or_b32 exec_lo, exec_lo, s20
	;;#ASMSTART
	s_wakeup
	;;#ASMEND
.LBB4_261:                              ;   in Loop: Header=BB4_199 Depth=2
	s_or_b32 exec_lo, exec_lo, s17
.LBB4_262:                              ;   in Loop: Header=BB4_199 Depth=2
	s_and_not1_saveexec_b32 s16, s16
	s_cbranch_execz .LBB4_264
; %bb.263:                              ;   in Loop: Header=BB4_199 Depth=2
	;;#ASMSTART
	s_waitcnt lgkmcnt(0) vmcnt(0)
	;;#ASMEND
	s_barrier_signal -1
	s_barrier_wait -1
.LBB4_264:                              ;   in Loop: Header=BB4_199 Depth=2
	s_or_b32 exec_lo, exec_lo, s16
	v_and_b32_e32 v2, 16, v30
.LBB4_265:                              ;   in Loop: Header=BB4_199 Depth=2
	s_or_b32 exec_lo, exec_lo, s13
	s_delay_alu instid0(SALU_CYCLE_1) | instskip(NEXT) | instid1(VALU_DEP_1)
	s_mov_b32 s13, exec_lo
	v_cmpx_ne_u32_e32 0, v2
	s_cbranch_execz .LBB4_198
; %bb.266:                              ;   in Loop: Header=BB4_199 Depth=2
	s_and_saveexec_b32 s16, s5
	s_cbranch_execz .LBB4_197
; %bb.267:                              ;   in Loop: Header=BB4_199 Depth=2
	global_wb scope:SCOPE_SYS
	s_wait_storecnt 0x0
	s_wait_loadcnt_dscnt 0x0
	flat_store_b32 v[38:39], v111 scope:SCOPE_SYS
	s_branch .LBB4_197
.LBB4_268:                              ;   in Loop: Header=BB4_47 Depth=1
	s_or_b32 exec_lo, exec_lo, s15
.LBB4_269:                              ;   in Loop: Header=BB4_47 Depth=1
	s_delay_alu instid0(SALU_CYCLE_1) | instskip(NEXT) | instid1(SALU_CYCLE_1)
	s_or_b32 exec_lo, exec_lo, s14
	s_and_not1_b32 vcc_lo, exec_lo, s58
	s_cbranch_vccnz .LBB4_494
; %bb.270:                              ;   in Loop: Header=BB4_47 Depth=1
	s_mov_b32 s14, 2
	s_branch .LBB4_273
.LBB4_271:                              ;   in Loop: Header=BB4_273 Depth=2
	s_or_b32 exec_lo, exec_lo, s16
.LBB4_272:                              ;   in Loop: Header=BB4_273 Depth=2
	s_delay_alu instid0(SALU_CYCLE_1) | instskip(SKIP_1) | instid1(SALU_CYCLE_1)
	s_or_b32 exec_lo, exec_lo, s15
	s_add_co_i32 s14, s14, 1
	s_cmp_eq_u32 s14, s18
	s_cbranch_scc1 .LBB4_494
.LBB4_273:                              ;   Parent Loop BB4_47 Depth=1
                                        ; =>  This Loop Header: Depth=2
                                        ;       Child Loop BB4_276 Depth 3
                                        ;         Child Loop BB4_284 Depth 4
                                        ;         Child Loop BB4_312 Depth 4
	;; [unrolled: 1-line block ×9, first 2 shown]
                                        ;       Child Loop BB4_422 Depth 3
                                        ;         Child Loop BB4_428 Depth 4
                                        ;         Child Loop BB4_456 Depth 4
                                        ;         Child Loop BB4_475 Depth 4
	s_sub_co_i32 s13, s56, s14
	v_mov_b32_e32 v10, 0
	s_cmp_ge_i32 s13, s18
	s_cselect_b32 s15, s18, 0
	s_delay_alu instid0(SALU_CYCLE_1) | instskip(NEXT) | instid1(SALU_CYCLE_1)
	s_sub_co_i32 s16, s13, s15
	s_ashr_i32 s17, s16, 31
	s_delay_alu instid0(SALU_CYCLE_1) | instskip(SKIP_1) | instid1(VALU_DEP_1)
	v_mul_u64_e32 v[12:13], s[16:17], v[26:27]
	s_mov_b32 s16, 0
	v_sub_nc_u64_e32 v[2:3], v[116:117], v[12:13]
	s_delay_alu instid0(VALU_DEP_1) | instskip(NEXT) | instid1(VALU_DEP_1)
	v_min_i64 v[8:9], v[26:27], v[2:3]
	v_max_i32_e32 v40, 0, v8
	v_cmp_lt_i32_e32 vcc_lo, 0, v8
	s_delay_alu instid0(VALU_DEP_2) | instskip(SKIP_1) | instid1(VALU_DEP_1)
	v_add_nc_u32_e32 v2, 31, v40
	s_and_b32 s13, s61, vcc_lo
	v_lshrrev_b32_e32 v2, 1, v2
	s_delay_alu instid0(VALU_DEP_1) | instskip(NEXT) | instid1(VALU_DEP_1)
	v_and_b32_e32 v3, 0x3ffffff0, v2
	v_dual_mov_b32 v2, 0 :: v_dual_max_i32 v8, s57, v3
	s_and_saveexec_b32 s15, s13
	s_cbranch_execz .LBB4_419
; %bb.274:                              ;   in Loop: Header=BB4_273 Depth=2
	v_mov_b32_e32 v10, 0
	s_mov_b32 s20, 1
	s_mov_b32 s17, -1
	s_branch .LBB4_276
.LBB4_275:                              ;   in Loop: Header=BB4_276 Depth=3
	s_wait_xcnt 0x0
	s_or_b32 exec_lo, exec_lo, s13
	v_dual_add_nc_u32 v10, v8, v10 :: v_dual_mov_b32 v2, s20
	s_xor_b32 s13, s17, -1
	s_mov_b32 s17, 0
	s_mov_b32 s20, 2
	s_delay_alu instid0(VALU_DEP_1) | instskip(SKIP_1) | instid1(SALU_CYCLE_1)
	v_cmp_ge_i32_e32 vcc_lo, v10, v40
	s_or_b32 s13, s13, vcc_lo
	s_and_b32 s13, exec_lo, s13
	s_delay_alu instid0(SALU_CYCLE_1) | instskip(NEXT) | instid1(SALU_CYCLE_1)
	s_or_b32 s16, s13, s16
	s_and_not1_b32 exec_lo, exec_lo, s16
	s_cbranch_execz .LBB4_418
.LBB4_276:                              ;   Parent Loop BB4_47 Depth=1
                                        ;     Parent Loop BB4_273 Depth=2
                                        ; =>    This Loop Header: Depth=3
                                        ;         Child Loop BB4_284 Depth 4
                                        ;         Child Loop BB4_312 Depth 4
	;; [unrolled: 1-line block ×9, first 2 shown]
	s_and_saveexec_b32 s13, s0
	s_cbranch_execz .LBB4_278
; %bb.277:                              ;   in Loop: Header=BB4_276 Depth=3
	s_trap 2
	ds_load_b64 v[2:3], v9
	v_ashrrev_i32_e32 v11, 31, v10
	s_wait_dscnt 0x0
	v_lshl_add_u64 v[2:3], v[118:119], 3, v[2:3]
	s_delay_alu instid0(VALU_DEP_1) | instskip(NEXT) | instid1(VALU_DEP_1)
	v_lshl_add_u64 v[2:3], v[12:13], 3, v[2:3]
	v_lshl_add_u64 v[2:3], v[10:11], 3, v[2:3]
	ds_store_b64 v9, v[2:3]
	ds_store_b64 v9, v[54:55]
.LBB4_278:                              ;   in Loop: Header=BB4_276 Depth=3
	s_or_b32 exec_lo, exec_lo, s13
	v_sub_nc_u32_e32 v2, v40, v10
	v_and_b32_e32 v3, 12, v30
	s_mov_b32 s41, exec_lo
	s_delay_alu instid0(VALU_DEP_2) | instskip(NEXT) | instid1(VALU_DEP_2)
	v_min_i32_e32 v8, v8, v2
	v_cmpx_ne_u32_e32 0, v3
	s_cbranch_execz .LBB4_304
; %bb.279:                              ;   in Loop: Header=BB4_276 Depth=3
	v_and_b32_e32 v112, 8, v30
	v_add_nc_u64_e32 v[14:15], 2, v[114:115]
	s_mov_b32 s44, exec_lo
	s_wait_loadcnt_dscnt 0x1
	s_delay_alu instid0(VALU_DEP_2) | instskip(NEXT) | instid1(VALU_DEP_1)
	v_add_nc_u64_e32 v[2:3], v[50:51], v[112:113]
	v_cmpx_lt_u64_e64 v[2:3], v[14:15]
	s_cbranch_execz .LBB4_291
; %bb.280:                              ;   in Loop: Header=BB4_276 Depth=3
	v_and_b32_e32 v2, 64, v30
	s_mov_b32 s45, 0
	s_mov_b32 s75, 0
                                        ; implicit-def: $sgpr72
                                        ; implicit-def: $sgpr73
                                        ; implicit-def: $sgpr74
	s_delay_alu instid0(VALU_DEP_1)
	v_cmp_eq_u32_e32 vcc_lo, 0, v2
	s_branch .LBB4_284
.LBB4_281:                              ;   in Loop: Header=BB4_284 Depth=4
	s_wait_loadcnt_dscnt 0x0
	v_add_nc_u64_e32 v[2:3], v[50:51], v[112:113]
	s_or_b32 s78, s78, exec_lo
	s_delay_alu instid0(VALU_DEP_1)
	v_cmp_ge_u64_e64 s13, v[2:3], v[14:15]
	s_or_not1_b32 s77, s13, exec_lo
.LBB4_282:                              ;   in Loop: Header=BB4_284 Depth=4
	s_or_b32 exec_lo, exec_lo, s88
	s_delay_alu instid0(SALU_CYCLE_1)
	s_and_not1_b32 s13, s74, exec_lo
	s_and_b32 s74, s78, exec_lo
	s_and_not1_b32 s73, s73, exec_lo
	s_and_b32 s77, s77, exec_lo
	s_or_b32 s74, s13, s74
	s_or_b32 s73, s73, s77
.LBB4_283:                              ;   in Loop: Header=BB4_284 Depth=4
	s_or_b32 exec_lo, exec_lo, s76
	s_delay_alu instid0(SALU_CYCLE_1) | instskip(NEXT) | instid1(SALU_CYCLE_1)
	s_and_b32 s13, exec_lo, s73
	s_or_b32 s45, s13, s45
	s_and_not1_b32 s13, s72, exec_lo
	s_and_b32 s72, s74, exec_lo
	s_delay_alu instid0(SALU_CYCLE_1)
	s_or_b32 s72, s13, s72
	s_and_not1_b32 exec_lo, exec_lo, s45
	s_cbranch_execz .LBB4_288
.LBB4_284:                              ;   Parent Loop BB4_47 Depth=1
                                        ;     Parent Loop BB4_273 Depth=2
                                        ;       Parent Loop BB4_276 Depth=3
                                        ; =>      This Inner Loop Header: Depth=4
	s_sleep 1
	s_wait_loadcnt_dscnt 0x0
	flat_load_b64 v[50:51], v[32:33] scope:SCOPE_SYS
	s_or_b32 s74, s74, exec_lo
	s_or_b32 s73, s73, exec_lo
                                        ; implicit-def: $vgpr9
	s_wait_xcnt 0x0
	s_and_saveexec_b32 s76, vcc_lo
	s_cbranch_execz .LBB4_283
; %bb.285:                              ;   in Loop: Header=BB4_284 Depth=4
	s_cmp_lt_i32 s75, 0x270f
	s_mov_b32 s77, -1
	s_cselect_b32 s79, -1, 0
	s_cmp_gt_i32 s75, 0x270e
	s_cbranch_scc0 .LBB4_287
; %bb.286:                              ;   in Loop: Header=BB4_284 Depth=4
	s_trap 2
	ds_load_b64 v[2:3], v2
	s_and_not1_b32 s75, s79, exec_lo
	s_mov_b32 s78, 0
	s_wait_storecnt 0x0
	s_wait_loadcnt_dscnt 0x0
	flat_load_b32 v9, v[2:3] scope:SCOPE_SYS
	s_wait_loadcnt_dscnt 0x0
	global_inv scope:SCOPE_SYS
	v_cmp_eq_u32_e64 s13, 0, v9
	s_and_b32 s13, s13, exec_lo
	s_delay_alu instid0(SALU_CYCLE_1)
	s_or_b32 s79, s75, s13
	s_mov_b32 s75, 0
	s_and_saveexec_b32 s88, s79
	s_cbranch_execz .LBB4_282
	s_branch .LBB4_281
.LBB4_287:                              ;   in Loop: Header=BB4_284 Depth=4
	s_add_co_i32 s75, s75, 1
	s_mov_b32 s78, -1
                                        ; implicit-def: $vgpr9
	s_and_saveexec_b32 s88, s79
	s_cbranch_execz .LBB4_282
	s_branch .LBB4_281
.LBB4_288:                              ;   in Loop: Header=BB4_276 Depth=3
	s_or_b32 exec_lo, exec_lo, s45
	s_xor_b32 s13, s72, -1
	s_delay_alu instid0(SALU_CYCLE_1) | instskip(NEXT) | instid1(SALU_CYCLE_1)
	s_and_saveexec_b32 s45, s13
	s_xor_b32 s13, exec_lo, s45
	s_cbranch_execz .LBB4_290
; %bb.289:                              ;   in Loop: Header=BB4_276 Depth=3
	v_or_b32_e32 v30, 64, v30
	s_wait_storecnt 0x0
	s_wait_loadcnt_dscnt 0x0
	ds_store_b32 v2, v9
	s_trap 2
.LBB4_290:                              ;   in Loop: Header=BB4_276 Depth=3
	s_or_b32 exec_lo, exec_lo, s13
.LBB4_291:                              ;   in Loop: Header=BB4_276 Depth=3
	s_delay_alu instid0(SALU_CYCLE_1) | instskip(SKIP_3) | instid1(VALU_DEP_1)
	s_or_b32 exec_lo, exec_lo, s44
	v_and_b32_e32 v2, 0x108, v30
	s_mov_b32 s13, exec_lo
	;;#ASMSTART
	s_wakeup
	;;#ASMEND
                                        ; implicit-def: $vgpr16_vgpr17
	v_cmpx_ne_u32_e32 0x108, v2
	s_xor_b32 s13, exec_lo, s13
; %bb.292:                              ;   in Loop: Header=BB4_276 Depth=3
	v_dual_mov_b32 v17, v113 :: v_dual_bitop2_b32 v16, 7, v114 bitop3:0x40
                                        ; implicit-def: $vgpr114_vgpr115
; %bb.293:                              ;   in Loop: Header=BB4_276 Depth=3
	s_and_not1_saveexec_b32 s13, s13
	s_cbranch_execz .LBB4_295
; %bb.294:                              ;   in Loop: Header=BB4_276 Depth=3
	v_dual_ashrrev_i32 v9, 31, v8 :: v_dual_bitop2_b32 v16, 7, v114 bitop3:0x40
	v_mov_b32_e32 v17, v113
	s_delay_alu instid0(VALU_DEP_2) | instskip(NEXT) | instid1(VALU_DEP_3)
	v_mad_nc_u64_u32 v[2:3], v16, 24, v[6:7]
	v_lshlrev_b64_e32 v[18:19], 3, v[8:9]
	flat_store_b64 v[2:3], v[18:19] offset:8
.LBB4_295:                              ;   in Loop: Header=BB4_276 Depth=3
	s_wait_xcnt 0x0
	s_or_b32 exec_lo, exec_lo, s13
	v_and_b32_e32 v2, 0x100, v30
	s_mov_b32 s13, -1
	s_mov_b32 s44, exec_lo
                                        ; implicit-def: $vgpr18_vgpr19
	s_delay_alu instid0(VALU_DEP_1)
	v_cmpx_ne_u32_e32 0, v2
	s_cbranch_execz .LBB4_299
; %bb.296:                              ;   in Loop: Header=BB4_276 Depth=3
	v_mad_nc_u64_u32 v[20:21], v16, 24, v[6:7]
	s_mov_b32 s45, exec_lo
                                        ; implicit-def: $vgpr18_vgpr19
	s_delay_alu instid0(VALU_DEP_1)
	v_mad_u32 v21, v17, 24, v21
	flat_load_b32 v2, v[20:21]
	s_wait_loadcnt_dscnt 0x0
	v_cmp_ne_u32_e32 vcc_lo, 1, v2
	s_wait_xcnt 0x0
	v_cmpx_eq_u32_e32 1, v2
	s_cbranch_execz .LBB4_298
; %bb.297:                              ;   in Loop: Header=BB4_276 Depth=3
	flat_load_b32 v2, v[20:21] offset:4 scope:SCOPE_SYS
	s_wait_loadcnt_dscnt 0x0
	v_ashrrev_i32_e32 v3, 31, v2
	s_delay_alu instid0(VALU_DEP_1)
	v_lshrrev_b64 v[18:19], 3, v[2:3]
.LBB4_298:                              ;   in Loop: Header=BB4_276 Depth=3
	s_wait_xcnt 0x0
	s_or_b32 exec_lo, exec_lo, s45
	s_delay_alu instid0(SALU_CYCLE_1)
	s_or_not1_b32 s13, vcc_lo, exec_lo
.LBB4_299:                              ;   in Loop: Header=BB4_276 Depth=3
	s_or_b32 exec_lo, exec_lo, s44
	s_and_saveexec_b32 s44, s13
; %bb.300:                              ;   in Loop: Header=BB4_276 Depth=3
	v_mul_u64_e32 v[18:19], v[16:17], v[34:35]
; %bb.301:                              ;   in Loop: Header=BB4_276 Depth=3
	s_or_b32 exec_lo, exec_lo, s44
	v_cmp_eq_u32_e32 vcc_lo, 0, v112
	v_and_b32_e32 v11, 0x2000, v30
	s_delay_alu instid0(VALU_DEP_3) | instskip(SKIP_2) | instid1(VALU_DEP_1)
	v_lshl_add_u64 v[2:3], v[18:19], 3, v[36:37]
	s_mov_b32 s13, exec_lo
	v_cndmask_b32_e32 v9, 0xc8, v120, vcc_lo
	v_add_nc_u32_e32 v9, v0, v9
	ds_store_b64 v9, v[2:3] offset:584
	v_cmpx_ne_u32_e32 0, v11
	s_cbranch_execz .LBB4_303
; %bb.302:                              ;   in Loop: Header=BB4_276 Depth=3
	ds_load_b64 v[2:3], v0 offset:872
	s_wait_dscnt 0x0
	v_add_nc_u64_e32 v[2:3], 1, v[2:3]
	ds_store_b64 v0, v[2:3] offset:872
.LBB4_303:                              ;   in Loop: Header=BB4_276 Depth=3
	s_or_b32 exec_lo, exec_lo, s13
	v_mov_b64_e32 v[114:115], v[14:15]
.LBB4_304:                              ;   in Loop: Header=BB4_276 Depth=3
	s_or_b32 exec_lo, exec_lo, s41
	s_and_saveexec_b32 s13, s2
	s_cbranch_execz .LBB4_323
; %bb.305:                              ;   in Loop: Header=BB4_276 Depth=3
	s_and_saveexec_b32 s41, s3
	s_delay_alu instid0(SALU_CYCLE_1)
	s_xor_b32 s41, exec_lo, s41
	s_cbranch_execz .LBB4_320
; %bb.306:                              ;   in Loop: Header=BB4_276 Depth=3
	s_and_saveexec_b32 s44, s6
	s_cbranch_execz .LBB4_319
; %bb.307:                              ;   in Loop: Header=BB4_276 Depth=3
	s_mov_b32 s72, exec_lo
	s_mov_b32 s45, exec_lo
	v_mbcnt_lo_u32_b32 v2, s72, 0
	global_wb scope:SCOPE_DEV
	s_wait_storecnt 0x0
	s_wait_loadcnt_dscnt 0x0
	global_inv scope:SCOPE_DEV
	v_cmpx_eq_u32_e32 0, v2
	s_cbranch_execz .LBB4_309
; %bb.308:                              ;   in Loop: Header=BB4_276 Depth=3
	s_bcnt1_i32_b32 s72, s72
	s_delay_alu instid0(SALU_CYCLE_1)
	v_mov_b32_e32 v112, s72
	s_wait_loadcnt 0x0
	ds_add_u64 v2, v[112:113]
	s_trap 2
.LBB4_309:                              ;   in Loop: Header=BB4_276 Depth=3
	s_or_b32 exec_lo, exec_lo, s45
	s_trap 2
	ds_load_b64 v[2:3], v2
	s_wait_dscnt 0x0
	v_add_nc_u64_e32 v[48:49], v[48:49], v[52:53]
	s_mov_b32 s45, exec_lo
	s_delay_alu instid0(VALU_DEP_1)
	v_cmpx_lt_u64_e64 v[2:3], v[48:49]
	s_cbranch_execz .LBB4_318
; %bb.310:                              ;   in Loop: Header=BB4_276 Depth=3
	s_mov_b32 s72, 0
	s_mov_b32 s75, 0
                                        ; implicit-def: $sgpr73
                                        ; implicit-def: $sgpr74
	s_branch .LBB4_312
.LBB4_311:                              ;   in Loop: Header=BB4_312 Depth=4
	s_or_b32 exec_lo, exec_lo, s77
	s_delay_alu instid0(SALU_CYCLE_1) | instskip(NEXT) | instid1(SALU_CYCLE_1)
	s_and_b32 s76, exec_lo, s78
	s_or_b32 s72, s76, s72
	s_and_not1_b32 s73, s73, exec_lo
	s_and_b32 s76, s74, exec_lo
	s_delay_alu instid0(SALU_CYCLE_1)
	s_or_b32 s73, s73, s76
	s_and_not1_b32 exec_lo, exec_lo, s72
	s_cbranch_execz .LBB4_316
.LBB4_312:                              ;   Parent Loop BB4_47 Depth=1
                                        ;     Parent Loop BB4_273 Depth=2
                                        ;       Parent Loop BB4_276 Depth=3
                                        ; =>      This Inner Loop Header: Depth=4
	s_add_co_i32 s75, s75, 1
	s_delay_alu instid0(SALU_CYCLE_1) | instskip(SKIP_1) | instid1(SALU_CYCLE_1)
	s_cmp_lg_u32 s75, 0x2710
	s_cselect_b32 s76, -1, 0
	s_and_b32 vcc_lo, exec_lo, s76
	s_cbranch_vccz .LBB4_314
; %bb.313:                              ;   in Loop: Header=BB4_312 Depth=4
	s_mov_b32 s78, -1
	s_or_b32 s74, s74, exec_lo
	s_and_saveexec_b32 s77, s76
	s_cbranch_execz .LBB4_311
	s_branch .LBB4_315
.LBB4_314:                              ;   in Loop: Header=BB4_312 Depth=4
	s_trap 2
	ds_load_b64 v[2:3], v2
	s_and_not1_b32 s76, s76, exec_lo
	s_mov_b32 s75, 0
	s_wait_loadcnt_dscnt 0x0
	flat_load_b32 v2, v[2:3] scope:SCOPE_SYS
	s_wait_loadcnt_dscnt 0x0
	global_inv scope:SCOPE_SYS
	v_cmp_eq_u32_e32 vcc_lo, 0, v2
	s_and_b32 s77, vcc_lo, exec_lo
	s_delay_alu instid0(SALU_CYCLE_1)
	s_or_b32 s76, s76, s77
	s_mov_b32 s78, -1
	s_or_b32 s74, s74, exec_lo
	s_and_saveexec_b32 s77, s76
	s_cbranch_execz .LBB4_311
.LBB4_315:                              ;   in Loop: Header=BB4_312 Depth=4
	s_sleep 1
	s_trap 2
	ds_load_b64 v[2:3], v2
	s_wait_dscnt 0x0
	s_and_not1_b32 s74, s74, exec_lo
	v_cmp_ge_u64_e32 vcc_lo, v[2:3], v[48:49]
	s_or_not1_b32 s78, vcc_lo, exec_lo
	s_branch .LBB4_311
.LBB4_316:                              ;   in Loop: Header=BB4_276 Depth=3
	s_or_b32 exec_lo, exec_lo, s72
	s_and_saveexec_b32 s72, s73
	s_delay_alu instid0(SALU_CYCLE_1)
	s_xor_b32 s72, exec_lo, s72
	s_cbranch_execz .LBB4_318
; %bb.317:                              ;   in Loop: Header=BB4_276 Depth=3
	ds_store_b32 v2, v111
	s_trap 2
.LBB4_318:                              ;   in Loop: Header=BB4_276 Depth=3
	s_or_b32 exec_lo, exec_lo, s45
	;;#ASMSTART
	s_wakeup
	;;#ASMEND
.LBB4_319:                              ;   in Loop: Header=BB4_276 Depth=3
	s_or_b32 exec_lo, exec_lo, s44
.LBB4_320:                              ;   in Loop: Header=BB4_276 Depth=3
	s_and_not1_saveexec_b32 s41, s41
	s_cbranch_execz .LBB4_322
; %bb.321:                              ;   in Loop: Header=BB4_276 Depth=3
	global_wb scope:SCOPE_DEV
	s_wait_storecnt 0x0
	s_wait_loadcnt_dscnt 0x0
	global_inv scope:SCOPE_DEV
	s_barrier_signal -1
	s_barrier_wait -1
.LBB4_322:                              ;   in Loop: Header=BB4_276 Depth=3
	s_or_b32 exec_lo, exec_lo, s41
.LBB4_323:                              ;   in Loop: Header=BB4_276 Depth=3
	s_delay_alu instid0(SALU_CYCLE_1) | instskip(SKIP_4) | instid1(VALU_DEP_1)
	s_or_b32 exec_lo, exec_lo, s13
	s_trap 2
	ds_load_b32 v9, v2
	v_and_b32_e32 v2, 0x4000, v30
	s_xor_b32 s13, s1, -1
	v_cmp_ne_u32_e32 vcc_lo, 0, v2
	s_and_b32 s41, s13, vcc_lo
	s_delay_alu instid0(SALU_CYCLE_1)
	s_and_saveexec_b32 s13, s41
	s_cbranch_execz .LBB4_342
; %bb.324:                              ;   in Loop: Header=BB4_276 Depth=3
	s_and_saveexec_b32 s41, s3
	s_delay_alu instid0(SALU_CYCLE_1)
	s_xor_b32 s41, exec_lo, s41
	s_cbranch_execz .LBB4_339
; %bb.325:                              ;   in Loop: Header=BB4_276 Depth=3
	s_and_saveexec_b32 s44, s6
	s_cbranch_execz .LBB4_338
; %bb.326:                              ;   in Loop: Header=BB4_276 Depth=3
	s_mov_b32 s72, exec_lo
	s_mov_b32 s45, exec_lo
	v_mbcnt_lo_u32_b32 v2, s72, 0
	global_wb scope:SCOPE_DEV
	s_wait_storecnt 0x0
	s_wait_loadcnt_dscnt 0x0
	global_inv scope:SCOPE_DEV
	v_cmpx_eq_u32_e32 0, v2
	s_cbranch_execz .LBB4_328
; %bb.327:                              ;   in Loop: Header=BB4_276 Depth=3
	s_bcnt1_i32_b32 s72, s72
	s_delay_alu instid0(SALU_CYCLE_1)
	v_mov_b32_e32 v112, s72
	s_wait_loadcnt 0x0
	ds_add_u64 v2, v[112:113]
	s_trap 2
.LBB4_328:                              ;   in Loop: Header=BB4_276 Depth=3
	s_or_b32 exec_lo, exec_lo, s45
	s_trap 2
	ds_load_b64 v[2:3], v2
	s_wait_dscnt 0x0
	v_add_nc_u64_e32 v[48:49], v[48:49], v[52:53]
	s_mov_b32 s45, exec_lo
	s_delay_alu instid0(VALU_DEP_1)
	v_cmpx_lt_u64_e64 v[2:3], v[48:49]
	s_cbranch_execz .LBB4_337
; %bb.329:                              ;   in Loop: Header=BB4_276 Depth=3
	s_mov_b32 s72, 0
	s_mov_b32 s75, 0
                                        ; implicit-def: $sgpr73
                                        ; implicit-def: $sgpr74
	s_branch .LBB4_331
.LBB4_330:                              ;   in Loop: Header=BB4_331 Depth=4
	s_or_b32 exec_lo, exec_lo, s77
	s_delay_alu instid0(SALU_CYCLE_1) | instskip(NEXT) | instid1(SALU_CYCLE_1)
	s_and_b32 s76, exec_lo, s78
	s_or_b32 s72, s76, s72
	s_and_not1_b32 s73, s73, exec_lo
	s_and_b32 s76, s74, exec_lo
	s_delay_alu instid0(SALU_CYCLE_1)
	s_or_b32 s73, s73, s76
	s_and_not1_b32 exec_lo, exec_lo, s72
	s_cbranch_execz .LBB4_335
.LBB4_331:                              ;   Parent Loop BB4_47 Depth=1
                                        ;     Parent Loop BB4_273 Depth=2
                                        ;       Parent Loop BB4_276 Depth=3
                                        ; =>      This Inner Loop Header: Depth=4
	s_add_co_i32 s75, s75, 1
	s_delay_alu instid0(SALU_CYCLE_1) | instskip(SKIP_1) | instid1(SALU_CYCLE_1)
	s_cmp_lg_u32 s75, 0x2710
	s_cselect_b32 s76, -1, 0
	s_and_b32 vcc_lo, exec_lo, s76
	s_cbranch_vccz .LBB4_333
; %bb.332:                              ;   in Loop: Header=BB4_331 Depth=4
	s_mov_b32 s78, -1
	s_or_b32 s74, s74, exec_lo
	s_and_saveexec_b32 s77, s76
	s_cbranch_execz .LBB4_330
	s_branch .LBB4_334
.LBB4_333:                              ;   in Loop: Header=BB4_331 Depth=4
	s_trap 2
	ds_load_b64 v[2:3], v2
	s_and_not1_b32 s76, s76, exec_lo
	s_mov_b32 s75, 0
	s_wait_loadcnt_dscnt 0x0
	flat_load_b32 v2, v[2:3] scope:SCOPE_SYS
	s_wait_loadcnt_dscnt 0x0
	global_inv scope:SCOPE_SYS
	v_cmp_eq_u32_e32 vcc_lo, 0, v2
	s_and_b32 s77, vcc_lo, exec_lo
	s_delay_alu instid0(SALU_CYCLE_1)
	s_or_b32 s76, s76, s77
	s_mov_b32 s78, -1
	s_or_b32 s74, s74, exec_lo
	s_and_saveexec_b32 s77, s76
	s_cbranch_execz .LBB4_330
.LBB4_334:                              ;   in Loop: Header=BB4_331 Depth=4
	s_sleep 1
	s_trap 2
	ds_load_b64 v[2:3], v2
	s_wait_dscnt 0x0
	s_and_not1_b32 s74, s74, exec_lo
	v_cmp_ge_u64_e32 vcc_lo, v[2:3], v[48:49]
	s_or_not1_b32 s78, vcc_lo, exec_lo
	s_branch .LBB4_330
.LBB4_335:                              ;   in Loop: Header=BB4_276 Depth=3
	s_or_b32 exec_lo, exec_lo, s72
	s_and_saveexec_b32 s72, s73
	s_delay_alu instid0(SALU_CYCLE_1)
	s_xor_b32 s72, exec_lo, s72
	s_cbranch_execz .LBB4_337
; %bb.336:                              ;   in Loop: Header=BB4_276 Depth=3
	ds_store_b32 v2, v111
	s_trap 2
.LBB4_337:                              ;   in Loop: Header=BB4_276 Depth=3
	s_or_b32 exec_lo, exec_lo, s45
	;;#ASMSTART
	s_wakeup
	;;#ASMEND
.LBB4_338:                              ;   in Loop: Header=BB4_276 Depth=3
	s_or_b32 exec_lo, exec_lo, s44
.LBB4_339:                              ;   in Loop: Header=BB4_276 Depth=3
	s_and_not1_saveexec_b32 s41, s41
	s_cbranch_execz .LBB4_341
; %bb.340:                              ;   in Loop: Header=BB4_276 Depth=3
	global_wb scope:SCOPE_DEV
	s_wait_storecnt 0x0
	s_wait_loadcnt_dscnt 0x0
	global_inv scope:SCOPE_DEV
	s_barrier_signal -1
	s_barrier_wait -1
.LBB4_341:                              ;   in Loop: Header=BB4_276 Depth=3
	s_or_b32 exec_lo, exec_lo, s41
.LBB4_342:                              ;   in Loop: Header=BB4_276 Depth=3
	s_delay_alu instid0(SALU_CYCLE_1)
	s_or_b32 exec_lo, exec_lo, s13
	s_trap 2
	ds_load_b64 v[14:15], v2
	s_wait_dscnt 0x0
	v_cmp_eq_u64_e32 vcc_lo, 0, v[14:15]
	s_cbranch_vccnz .LBB4_350
; %bb.343:                              ;   in Loop: Header=BB4_276 Depth=3
	s_trap 2
	ds_load_b64 v[16:17], v2
	s_wait_dscnt 0x0
	v_cmp_eq_u64_e32 vcc_lo, 0, v[16:17]
	s_cbranch_vccnz .LBB4_350
; %bb.344:                              ;   in Loop: Header=BB4_276 Depth=3
	s_mov_b32 s13, -1
	s_and_saveexec_b32 s41, s11
	s_cbranch_execz .LBB4_346
; %bb.345:                              ;   in Loop: Header=BB4_276 Depth=3
	ds_load_b32 v2, v0 offset:720
	s_wait_dscnt 0x0
	v_and_b32_e32 v2, 15, v2
	s_delay_alu instid0(VALU_DEP_1)
	v_cmp_eq_u32_e32 vcc_lo, 0, v2
	s_or_not1_b32 s13, vcc_lo, exec_lo
.LBB4_346:                              ;   in Loop: Header=BB4_276 Depth=3
	s_or_b32 exec_lo, exec_lo, s41
	s_and_saveexec_b32 s41, s10
	s_cbranch_execz .LBB4_348
; %bb.347:                              ;   in Loop: Header=BB4_276 Depth=3
	ds_load_b32 v2, v0 offset:784
	s_wait_dscnt 0x0
	v_and_b32_e32 v2, 15, v2
	s_delay_alu instid0(VALU_DEP_1) | instskip(SKIP_3) | instid1(SALU_CYCLE_1)
	v_cmp_eq_u32_e32 vcc_lo, 0, v2
	s_and_b32 s44, s13, vcc_lo
	s_and_not1_b32 s13, s13, exec_lo
	s_and_b32 s44, s44, exec_lo
	s_or_b32 s13, s13, s44
.LBB4_348:                              ;   in Loop: Header=BB4_276 Depth=3
	s_or_b32 exec_lo, exec_lo, s41
	v_cmp_eq_u32_e32 vcc_lo, 0, v9
	s_xor_b32 s13, s13, -1
	s_mov_b32 s44, -1
	v_cndmask_b32_e64 v3, 0, 1, s13
	v_dual_mov_b32 v11, 0 :: v_dual_cndmask_b32 v2, 0, v8
	s_delay_alu instid0(VALU_DEP_2) | instskip(NEXT) | instid1(VALU_DEP_2)
	v_cmp_ne_u32_e32 vcc_lo, 0, v3
	v_lshlrev_b32_e32 v9, 3, v2
	s_cbranch_vccz .LBB4_355
; %bb.349:                              ;   in Loop: Header=BB4_276 Depth=3
	v_dual_mov_b32 v18, v0 :: v_dual_mov_b32 v42, v109
	s_and_saveexec_b32 s13, s44
	s_cbranch_execnz .LBB4_368
	s_branch .LBB4_376
.LBB4_350:                              ;   in Loop: Header=BB4_276 Depth=3
	s_mov_b32 s13, 0
	s_and_saveexec_b32 s41, s2
	s_cbranch_execnz .LBB4_377
.LBB4_351:                              ;   in Loop: Header=BB4_276 Depth=3
	s_or_b32 exec_lo, exec_lo, s41
                                        ; implicit-def: $vgpr2
	s_and_saveexec_b32 s41, s12
	s_delay_alu instid0(SALU_CYCLE_1)
	s_xor_b32 s41, exec_lo, s41
	s_cbranch_execz .LBB4_395
.LBB4_352:                              ;   in Loop: Header=BB4_276 Depth=3
	v_and_b32_e32 v2, 16, v30
	s_delay_alu instid0(VALU_DEP_1) | instskip(SKIP_2) | instid1(SALU_CYCLE_1)
	v_cmp_ne_u32_e32 vcc_lo, 0, v2
	v_and_b32_e32 v2, 16, v30
	s_and_b32 s44, vcc_lo, s13
	s_and_saveexec_b32 s13, s44
	s_cbranch_execz .LBB4_354
; %bb.353:                              ;   in Loop: Header=BB4_276 Depth=3
	v_mov_b32_e32 v2, 1
	global_wb scope:SCOPE_SYS
	s_wait_storecnt 0x0
	s_wait_loadcnt_dscnt 0x0
	global_inv scope:SCOPE_SYS
.LBB4_354:                              ;   in Loop: Header=BB4_276 Depth=3
	s_or_b32 exec_lo, exec_lo, s13
	s_and_not1_saveexec_b32 s13, s41
	s_cbranch_execz .LBB4_414
	s_branch .LBB4_396
.LBB4_355:                              ;   in Loop: Header=BB4_276 Depth=3
	s_delay_alu instid0(VALU_DEP_1) | instskip(SKIP_1) | instid1(VALU_DEP_1)
	v_ashrrev_i32_e32 v3, 31, v9
	s_mov_b32 s13, exec_lo
	v_lshrrev_b32_e32 v3, 22, v3
	s_delay_alu instid0(VALU_DEP_1) | instskip(NEXT) | instid1(VALU_DEP_1)
	v_add_nc_u32_e32 v3, v9, v3
	v_ashrrev_i32_e32 v11, 10, v3
	s_delay_alu instid0(VALU_DEP_1) | instskip(NEXT) | instid1(VALU_DEP_1)
	v_sub_nc_u32_e32 v43, v11, v110
	v_cmpx_lt_i32_e32 0, v43
	s_cbranch_execz .LBB4_359
; %bb.356:                              ;   in Loop: Header=BB4_276 Depth=3
	s_trap 2
	ds_load_b64 v[20:21], v3
	v_add_nc_u64_e32 v[18:19], v[14:15], v[82:83]
	v_add_nc_u64_e32 v[22:23], v[16:17], v[82:83]
	s_mov_b32 s41, 0
	s_wait_dscnt 0x0
	v_add_nc_u64_e32 v[20:21], v[20:21], v[82:83]
.LBB4_357:                              ;   Parent Loop BB4_47 Depth=1
                                        ;     Parent Loop BB4_273 Depth=2
                                        ;       Parent Loop BB4_276 Depth=3
                                        ; =>      This Inner Loop Header: Depth=4
	global_load_b128 v[44:47], v[20:21], off th:TH_LOAD_NT
	s_clause 0x1
	global_load_b128 v[56:59], v[18:19], off th:TH_LOAD_NT
	global_load_b128 v[60:63], v[18:19], off offset:512 th:TH_LOAD_NT
	global_load_b128 v[72:75], v[20:21], off offset:512 th:TH_LOAD_NT
	v_sub_nc_u32_e32 v43, v43, v52
	s_wait_xcnt 0x1
	v_add_nc_u64_e32 v[18:19], v[18:19], v[84:85]
	s_wait_xcnt 0x0
	v_add_nc_u64_e32 v[20:21], v[20:21], v[84:85]
	v_cmp_gt_i32_e32 vcc_lo, 1, v43
	s_or_b32 s41, vcc_lo, s41
	s_wait_loadcnt 0x2
	v_add_nc_u64_e32 v[44:45], v[44:45], v[56:57]
	v_add_nc_u64_e32 v[46:47], v[46:47], v[58:59]
	s_wait_loadcnt 0x0
	v_add_nc_u64_e32 v[56:57], v[72:73], v[60:61]
	v_add_nc_u64_e32 v[58:59], v[74:75], v[62:63]
	s_clause 0x1
	global_store_b128 v[22:23], v[44:47], off th:TH_STORE_NT
	global_store_b128 v[22:23], v[56:59], off offset:512 th:TH_STORE_NT
	s_wait_xcnt 0x0
	v_add_nc_u64_e32 v[22:23], v[22:23], v[84:85]
	s_and_not1_b32 exec_lo, exec_lo, s41
	s_cbranch_execnz .LBB4_357
; %bb.358:                              ;   in Loop: Header=BB4_276 Depth=3
	s_or_b32 exec_lo, exec_lo, s41
.LBB4_359:                              ;   in Loop: Header=BB4_276 Depth=3
	s_delay_alu instid0(SALU_CYCLE_1) | instskip(SKIP_3) | instid1(VALU_DEP_1)
	s_or_b32 exec_lo, exec_lo, s13
	v_dual_lshlrev_b32 v41, 10, v11 :: v_dual_mov_b32 v11, 0
	s_mov_b32 s44, 0
	s_mov_b32 s41, exec_lo
                                        ; implicit-def: $vgpr18
                                        ; implicit-def: $vgpr42
	v_cmpx_ne_u32_e64 v9, v41
	s_cbranch_execz .LBB4_367
; %bb.360:                              ;   in Loop: Header=BB4_276 Depth=3
	v_dual_lshlrev_b32 v3, 5, v43 :: v_dual_sub_nc_u32 v19, v9, v41
	s_mov_b32 s44, exec_lo
	s_delay_alu instid0(VALU_DEP_1) | instskip(NEXT) | instid1(VALU_DEP_1)
	v_ashrrev_i32_e32 v18, 31, v19
	v_dual_sub_nc_u32 v3, v109, v3 :: v_dual_lshrrev_b32 v18, 23, v18
	s_delay_alu instid0(VALU_DEP_1) | instskip(NEXT) | instid1(VALU_DEP_1)
	v_dual_ashrrev_i32 v11, 31, v3 :: v_dual_add_nc_u32 v18, v19, v18
	v_lshrrev_b32_e32 v11, 27, v11
	s_delay_alu instid0(VALU_DEP_2) | instskip(NEXT) | instid1(VALU_DEP_2)
	v_and_b32_e32 v43, 0xfffffe00, v18
	v_add_nc_u32_e32 v11, v3, v11
	s_delay_alu instid0(VALU_DEP_2) | instskip(NEXT) | instid1(VALU_DEP_2)
	v_sub_nc_u32_e32 v45, v19, v43
	v_and_b32_e32 v20, 0xffffffe0, v11
	s_delay_alu instid0(VALU_DEP_2) | instskip(NEXT) | instid1(VALU_DEP_2)
	v_cmp_lt_i32_e32 vcc_lo, 15, v45
	v_dual_sub_nc_u32 v44, v3, v20 :: v_dual_ashrrev_i32 v20, 9, v18
	s_delay_alu instid0(VALU_DEP_1) | instskip(NEXT) | instid1(VALU_DEP_2)
	v_dual_ashrrev_i32 v3, 5, v11 :: v_dual_lshlrev_b32 v11, 4, v44
	v_add_co_ci_u32_e64 v20, null, 0, v20, vcc_lo
	s_delay_alu instid0(VALU_DEP_2) | instskip(NEXT) | instid1(VALU_DEP_1)
	v_lshl_add_u32 v18, v3, 9, v11
	v_dual_sub_nc_u32 v11, v19, v18 :: v_dual_sub_nc_u32 v46, v20, v3
	s_delay_alu instid0(VALU_DEP_1)
	v_cmpx_lt_i32_e32 15, v11
	s_cbranch_execz .LBB4_364
; %bb.361:                              ;   in Loop: Header=BB4_276 Depth=3
	s_trap 2
	ds_load_b64 v[20:21], v3
	v_add_nc_u32_e32 v22, v18, v41
	s_mov_b32 s45, 0
	s_delay_alu instid0(VALU_DEP_1) | instskip(NEXT) | instid1(VALU_DEP_1)
	v_ashrrev_i32_e32 v23, 31, v22
	v_add_nc_u64_e32 v[18:19], v[22:23], v[14:15]
	s_wait_dscnt 0x0
	v_add_nc_u64_e32 v[20:21], v[20:21], v[22:23]
	v_add_nc_u64_e32 v[22:23], v[22:23], v[16:17]
.LBB4_362:                              ;   Parent Loop BB4_47 Depth=1
                                        ;     Parent Loop BB4_273 Depth=2
                                        ;       Parent Loop BB4_276 Depth=3
                                        ; =>      This Inner Loop Header: Depth=4
	global_load_b128 v[56:59], v[18:19], off th:TH_LOAD_NT
	global_load_b128 v[60:63], v[20:21], off th:TH_LOAD_NT
	v_dual_sub_nc_u32 v11, v11, v70 :: v_dual_sub_nc_u32 v46, v46, v52
	s_wait_xcnt 0x1
	v_add_nc_u64_e32 v[18:19], v[18:19], v[70:71]
	s_wait_xcnt 0x0
	v_add_nc_u64_e32 v[20:21], v[20:21], v[70:71]
	v_cmp_gt_i32_e64 s13, 16, v11
	s_or_b32 s45, s13, s45
	s_wait_loadcnt 0x0
	v_add_nc_u64_e32 v[56:57], v[60:61], v[56:57]
	v_add_nc_u64_e32 v[58:59], v[62:63], v[58:59]
	global_store_b128 v[22:23], v[56:59], off th:TH_STORE_NT
	s_wait_xcnt 0x0
	v_add_nc_u64_e32 v[22:23], v[22:23], v[70:71]
	s_and_not1_b32 exec_lo, exec_lo, s45
	s_cbranch_execnz .LBB4_362
; %bb.363:                              ;   in Loop: Header=BB4_276 Depth=3
	s_or_b32 exec_lo, exec_lo, s45
.LBB4_364:                              ;   in Loop: Header=BB4_276 Depth=3
	s_delay_alu instid0(SALU_CYCLE_1) | instskip(SKIP_3) | instid1(VALU_DEP_1)
	s_or_b32 exec_lo, exec_lo, s44
	v_dual_mov_b32 v11, 0 :: v_dual_bitop2_b32 v19, 8, v9 bitop3:0x40
	s_mov_b32 s44, 0
	s_mov_b32 s45, exec_lo
                                        ; implicit-def: $vgpr18
                                        ; implicit-def: $vgpr42
	v_cndmask_b32_e32 v9, v45, v19, vcc_lo
	s_delay_alu instid0(VALU_DEP_1)
	v_cmpx_ne_u32_e32 0, v9
	s_cbranch_execz .LBB4_366
; %bb.365:                              ;   in Loop: Header=BB4_276 Depth=3
	v_cmp_lt_i32_e64 s13, 0, v46
	s_mov_b32 s44, exec_lo
	v_dual_sub_nc_u32 v11, v45, v19 :: v_dual_cndmask_b32 v3, 0, v52, s13
	s_delay_alu instid0(VALU_DEP_1) | instskip(NEXT) | instid1(VALU_DEP_1)
	v_dual_cndmask_b32 v11, 0, v11, vcc_lo :: v_dual_sub_nc_u32 v3, v3, v46
	v_add3_u32 v11, v43, v41, v11
	s_delay_alu instid0(VALU_DEP_2) | instskip(NEXT) | instid1(VALU_DEP_1)
	v_lshl_add_u32 v18, v3, 5, v44
	v_ashrrev_i32_e32 v3, 31, v18
	s_delay_alu instid0(VALU_DEP_1) | instskip(NEXT) | instid1(VALU_DEP_1)
	v_lshrrev_b32_e32 v3, 27, v3
	v_add_nc_u32_e32 v3, v18, v3
	s_delay_alu instid0(VALU_DEP_1) | instskip(NEXT) | instid1(VALU_DEP_1)
	v_and_b32_e32 v3, 0xffffffe0, v3
	v_sub_nc_u32_e32 v42, v18, v3
.LBB4_366:                              ;   in Loop: Header=BB4_276 Depth=3
	s_or_b32 exec_lo, exec_lo, s45
	s_delay_alu instid0(SALU_CYCLE_1)
	s_and_b32 s44, s44, exec_lo
.LBB4_367:                              ;   in Loop: Header=BB4_276 Depth=3
	s_or_b32 exec_lo, exec_lo, s41
	s_and_saveexec_b32 s13, s44
	s_cbranch_execz .LBB4_376
.LBB4_368:                              ;   in Loop: Header=BB4_276 Depth=3
	s_delay_alu instid0(VALU_DEP_1) | instskip(SKIP_1) | instid1(VALU_DEP_1)
	v_dual_ashrrev_i32 v3, 31, v18 :: v_dual_ashrrev_i32 v19, 31, v9
	s_mov_b32 s41, exec_lo
	v_lshrrev_b32_e32 v19, 23, v19
	s_delay_alu instid0(VALU_DEP_1) | instskip(NEXT) | instid1(VALU_DEP_1)
	v_add_nc_u32_e32 v19, v9, v19
	v_ashrrev_i32_e32 v43, 9, v19
	v_lshrrev_b32_e32 v3, 27, v3
	s_delay_alu instid0(VALU_DEP_1) | instskip(NEXT) | instid1(VALU_DEP_1)
	v_add_nc_u32_e32 v3, v18, v3
	v_ashrrev_i32_e32 v18, 5, v3
	s_delay_alu instid0(VALU_DEP_1) | instskip(NEXT) | instid1(VALU_DEP_1)
	v_sub_nc_u32_e32 v41, v43, v18
	v_cmpx_lt_i32_e32 0, v41
	s_cbranch_execz .LBB4_372
; %bb.369:                              ;   in Loop: Header=BB4_276 Depth=3
	s_trap 2
	ds_load_b64 v[20:21], v3
	v_lshlrev_b32_e32 v3, 3, v42
	v_lshlrev_b32_e32 v18, 9, v18
	s_mov_b32 s44, 0
	s_delay_alu instid0(VALU_DEP_1) | instskip(NEXT) | instid1(VALU_DEP_1)
	v_add3_u32 v22, v11, v3, v18
	v_ashrrev_i32_e32 v23, 31, v22
	s_delay_alu instid0(VALU_DEP_1)
	v_add_nc_u64_e32 v[18:19], v[22:23], v[14:15]
	s_wait_dscnt 0x0
	v_add_nc_u64_e32 v[20:21], v[20:21], v[22:23]
	v_add_nc_u64_e32 v[22:23], v[22:23], v[16:17]
.LBB4_370:                              ;   Parent Loop BB4_47 Depth=1
                                        ;     Parent Loop BB4_273 Depth=2
                                        ;       Parent Loop BB4_276 Depth=3
                                        ; =>      This Inner Loop Header: Depth=4
	s_clause 0x1
	flat_load_b64 v[28:29], v[18:19] th:TH_LOAD_NT
	flat_load_b64 v[44:45], v[18:19] offset:256 th:TH_LOAD_NT
	s_clause 0x1
	flat_load_b64 v[46:47], v[20:21] th:TH_LOAD_NT
	flat_load_b64 v[56:57], v[20:21] offset:256 th:TH_LOAD_NT
	v_sub_nc_u32_e32 v41, v41, v52
	s_wait_xcnt 0x2
	v_add_nc_u64_e32 v[18:19], v[18:19], v[70:71]
	s_wait_xcnt 0x0
	v_add_nc_u64_e32 v[20:21], v[20:21], v[70:71]
	v_cmp_gt_i32_e32 vcc_lo, 1, v41
	s_or_b32 s44, vcc_lo, s44
	s_wait_loadcnt_dscnt 0x101
	v_add_nc_u64_e32 v[28:29], v[46:47], v[28:29]
	s_wait_loadcnt_dscnt 0x0
	v_add_nc_u64_e32 v[44:45], v[56:57], v[44:45]
	s_clause 0x1
	flat_store_b64 v[22:23], v[28:29] th:TH_STORE_NT
	flat_store_b64 v[22:23], v[44:45] offset:256 th:TH_STORE_NT
	s_wait_xcnt 0x0
	v_add_nc_u64_e32 v[22:23], v[22:23], v[70:71]
	s_and_not1_b32 exec_lo, exec_lo, s44
	s_cbranch_execnz .LBB4_370
; %bb.371:                              ;   in Loop: Header=BB4_276 Depth=3
	s_or_b32 exec_lo, exec_lo, s44
.LBB4_372:                              ;   in Loop: Header=BB4_276 Depth=3
	s_delay_alu instid0(SALU_CYCLE_1) | instskip(SKIP_1) | instid1(VALU_DEP_1)
	s_or_b32 exec_lo, exec_lo, s41
	v_lshlrev_b32_e32 v18, 9, v43
	v_cmp_ne_u32_e32 vcc_lo, v9, v18
	s_and_b32 exec_lo, exec_lo, vcc_lo
	s_cbranch_execz .LBB4_376
; %bb.373:                              ;   in Loop: Header=BB4_276 Depth=3
	v_lshlrev_b32_e32 v3, 5, v41
	s_delay_alu instid0(VALU_DEP_1) | instskip(NEXT) | instid1(VALU_DEP_1)
	v_sub_nc_u32_e32 v3, v42, v3
	v_ashrrev_i32_e32 v19, 31, v3
	s_delay_alu instid0(VALU_DEP_1) | instskip(NEXT) | instid1(VALU_DEP_1)
	v_lshrrev_b32_e32 v19, 27, v19
	v_add_nc_u32_e32 v19, v3, v19
	s_delay_alu instid0(VALU_DEP_1) | instskip(NEXT) | instid1(VALU_DEP_1)
	v_and_b32_e32 v20, 0x1fffffe0, v19
	v_dual_lshlrev_b32 v19, 3, v19 :: v_dual_sub_nc_u32 v3, v3, v20
	s_delay_alu instid0(VALU_DEP_1) | instskip(NEXT) | instid1(VALU_DEP_2)
	v_and_b32_e32 v19, 0xffffff00, v19
	v_lshlrev_b32_e32 v3, 3, v3
	s_delay_alu instid0(VALU_DEP_1) | instskip(NEXT) | instid1(VALU_DEP_1)
	v_add3_u32 v18, v19, v3, v18
	v_sub_nc_u32_e32 v9, v9, v18
	s_delay_alu instid0(VALU_DEP_1)
	v_cmp_lt_i32_e32 vcc_lo, 7, v9
	s_and_b32 exec_lo, exec_lo, vcc_lo
	s_cbranch_execz .LBB4_376
; %bb.374:                              ;   in Loop: Header=BB4_276 Depth=3
	s_trap 2
	ds_load_b64 v[20:21], v3
	v_add_nc_u32_e32 v22, v18, v11
	s_mov_b32 s41, 0
	s_delay_alu instid0(VALU_DEP_1) | instskip(NEXT) | instid1(VALU_DEP_1)
	v_ashrrev_i32_e32 v23, 31, v22
	v_add_nc_u64_e32 v[14:15], v[22:23], v[14:15]
	v_add_nc_u64_e32 v[16:17], v[22:23], v[16:17]
	s_wait_dscnt 0x0
	v_add_nc_u64_e32 v[18:19], v[20:21], v[22:23]
.LBB4_375:                              ;   Parent Loop BB4_47 Depth=1
                                        ;     Parent Loop BB4_273 Depth=2
                                        ;       Parent Loop BB4_276 Depth=3
                                        ; =>      This Inner Loop Header: Depth=4
	flat_load_b64 v[20:21], v[14:15] th:TH_LOAD_NT
	flat_load_b64 v[22:23], v[18:19] th:TH_LOAD_NT
	v_sub_nc_u32_e32 v9, v9, v80
	s_wait_xcnt 0x1
	v_add_nc_u64_e32 v[14:15], v[14:15], v[80:81]
	s_wait_xcnt 0x0
	v_add_nc_u64_e32 v[18:19], v[18:19], v[80:81]
	v_cmp_gt_i32_e32 vcc_lo, 8, v9
	s_or_b32 s41, vcc_lo, s41
	s_wait_loadcnt_dscnt 0x0
	v_add_nc_u64_e32 v[20:21], v[22:23], v[20:21]
	flat_store_b64 v[16:17], v[20:21] th:TH_STORE_NT
	s_wait_xcnt 0x0
	v_add_nc_u64_e32 v[16:17], v[16:17], v[80:81]
	s_and_not1_b32 exec_lo, exec_lo, s41
	s_cbranch_execnz .LBB4_375
.LBB4_376:                              ;   in Loop: Header=BB4_276 Depth=3
	s_or_b32 exec_lo, exec_lo, s13
	v_cmp_lt_i32_e64 s13, 0, v2
	s_and_saveexec_b32 s41, s2
	s_cbranch_execz .LBB4_351
.LBB4_377:                              ;   in Loop: Header=BB4_276 Depth=3
	s_and_saveexec_b32 s44, s3
	s_delay_alu instid0(SALU_CYCLE_1)
	s_xor_b32 s44, exec_lo, s44
	s_cbranch_execz .LBB4_392
; %bb.378:                              ;   in Loop: Header=BB4_276 Depth=3
	s_and_saveexec_b32 s45, s6
	s_cbranch_execz .LBB4_391
; %bb.379:                              ;   in Loop: Header=BB4_276 Depth=3
	s_mov_b32 s73, exec_lo
	s_mov_b32 s72, exec_lo
	v_mbcnt_lo_u32_b32 v2, s73, 0
	global_wb scope:SCOPE_DEV
	s_wait_storecnt 0x0
	s_wait_loadcnt_dscnt 0x0
	global_inv scope:SCOPE_DEV
	v_cmpx_eq_u32_e32 0, v2
	s_cbranch_execz .LBB4_381
; %bb.380:                              ;   in Loop: Header=BB4_276 Depth=3
	s_bcnt1_i32_b32 s73, s73
	s_delay_alu instid0(SALU_CYCLE_1)
	v_mov_b32_e32 v112, s73
	s_wait_loadcnt 0x0
	ds_add_u64 v2, v[112:113]
	s_trap 2
.LBB4_381:                              ;   in Loop: Header=BB4_276 Depth=3
	s_or_b32 exec_lo, exec_lo, s72
	s_trap 2
	ds_load_b64 v[2:3], v2
	s_wait_dscnt 0x0
	v_add_nc_u64_e32 v[48:49], v[48:49], v[52:53]
	s_mov_b32 s72, exec_lo
	s_delay_alu instid0(VALU_DEP_1)
	v_cmpx_lt_u64_e64 v[2:3], v[48:49]
	s_cbranch_execz .LBB4_390
; %bb.382:                              ;   in Loop: Header=BB4_276 Depth=3
	s_mov_b32 s73, 0
	s_mov_b32 s76, 0
                                        ; implicit-def: $sgpr74
                                        ; implicit-def: $sgpr75
	s_branch .LBB4_384
.LBB4_383:                              ;   in Loop: Header=BB4_384 Depth=4
	s_or_b32 exec_lo, exec_lo, s78
	s_delay_alu instid0(SALU_CYCLE_1) | instskip(NEXT) | instid1(SALU_CYCLE_1)
	s_and_b32 s77, exec_lo, s79
	s_or_b32 s73, s77, s73
	s_and_not1_b32 s74, s74, exec_lo
	s_and_b32 s77, s75, exec_lo
	s_delay_alu instid0(SALU_CYCLE_1)
	s_or_b32 s74, s74, s77
	s_and_not1_b32 exec_lo, exec_lo, s73
	s_cbranch_execz .LBB4_388
.LBB4_384:                              ;   Parent Loop BB4_47 Depth=1
                                        ;     Parent Loop BB4_273 Depth=2
                                        ;       Parent Loop BB4_276 Depth=3
                                        ; =>      This Inner Loop Header: Depth=4
	s_add_co_i32 s76, s76, 1
	s_delay_alu instid0(SALU_CYCLE_1) | instskip(SKIP_1) | instid1(SALU_CYCLE_1)
	s_cmp_lg_u32 s76, 0x2710
	s_cselect_b32 s77, -1, 0
	s_and_b32 vcc_lo, exec_lo, s77
	s_cbranch_vccz .LBB4_386
; %bb.385:                              ;   in Loop: Header=BB4_384 Depth=4
	s_mov_b32 s79, -1
	s_or_b32 s75, s75, exec_lo
	s_and_saveexec_b32 s78, s77
	s_cbranch_execz .LBB4_383
	s_branch .LBB4_387
.LBB4_386:                              ;   in Loop: Header=BB4_384 Depth=4
	s_trap 2
	ds_load_b64 v[2:3], v2
	s_and_not1_b32 s77, s77, exec_lo
	s_mov_b32 s76, 0
	s_wait_loadcnt_dscnt 0x0
	flat_load_b32 v2, v[2:3] scope:SCOPE_SYS
	s_wait_loadcnt_dscnt 0x0
	global_inv scope:SCOPE_SYS
	v_cmp_eq_u32_e32 vcc_lo, 0, v2
	s_and_b32 s78, vcc_lo, exec_lo
	s_delay_alu instid0(SALU_CYCLE_1)
	s_or_b32 s77, s77, s78
	s_mov_b32 s79, -1
	s_or_b32 s75, s75, exec_lo
	s_and_saveexec_b32 s78, s77
	s_cbranch_execz .LBB4_383
.LBB4_387:                              ;   in Loop: Header=BB4_384 Depth=4
	s_sleep 1
	s_trap 2
	ds_load_b64 v[2:3], v2
	s_wait_dscnt 0x0
	s_and_not1_b32 s75, s75, exec_lo
	v_cmp_ge_u64_e32 vcc_lo, v[2:3], v[48:49]
	s_or_not1_b32 s79, vcc_lo, exec_lo
	s_branch .LBB4_383
.LBB4_388:                              ;   in Loop: Header=BB4_276 Depth=3
	s_or_b32 exec_lo, exec_lo, s73
	s_and_saveexec_b32 s73, s74
	s_delay_alu instid0(SALU_CYCLE_1)
	s_xor_b32 s73, exec_lo, s73
	s_cbranch_execz .LBB4_390
; %bb.389:                              ;   in Loop: Header=BB4_276 Depth=3
	ds_store_b32 v2, v111
	s_trap 2
.LBB4_390:                              ;   in Loop: Header=BB4_276 Depth=3
	s_or_b32 exec_lo, exec_lo, s72
	;;#ASMSTART
	s_wakeup
	;;#ASMEND
.LBB4_391:                              ;   in Loop: Header=BB4_276 Depth=3
	s_or_b32 exec_lo, exec_lo, s45
.LBB4_392:                              ;   in Loop: Header=BB4_276 Depth=3
	s_and_not1_saveexec_b32 s44, s44
	s_cbranch_execz .LBB4_394
; %bb.393:                              ;   in Loop: Header=BB4_276 Depth=3
	global_wb scope:SCOPE_DEV
	s_wait_storecnt 0x0
	s_wait_loadcnt_dscnt 0x0
	global_inv scope:SCOPE_DEV
	s_barrier_signal -1
	s_barrier_wait -1
.LBB4_394:                              ;   in Loop: Header=BB4_276 Depth=3
	s_or_b32 exec_lo, exec_lo, s44
	s_delay_alu instid0(SALU_CYCLE_1) | instskip(SKIP_1) | instid1(SALU_CYCLE_1)
	s_or_b32 exec_lo, exec_lo, s41
                                        ; implicit-def: $vgpr2
	s_and_saveexec_b32 s41, s12
	s_xor_b32 s41, exec_lo, s41
	s_cbranch_execnz .LBB4_352
.LBB4_395:                              ;   in Loop: Header=BB4_276 Depth=3
	s_and_not1_saveexec_b32 s13, s41
	s_cbranch_execz .LBB4_414
.LBB4_396:                              ;   in Loop: Header=BB4_276 Depth=3
	s_and_saveexec_b32 s41, s3
	s_delay_alu instid0(SALU_CYCLE_1)
	s_xor_b32 s41, exec_lo, s41
	s_cbranch_execz .LBB4_411
; %bb.397:                              ;   in Loop: Header=BB4_276 Depth=3
	s_and_saveexec_b32 s44, s6
	s_cbranch_execz .LBB4_410
; %bb.398:                              ;   in Loop: Header=BB4_276 Depth=3
	s_mov_b32 s72, exec_lo
	s_mov_b32 s45, exec_lo
	v_mbcnt_lo_u32_b32 v2, s72, 0
	;;#ASMSTART
	s_waitcnt lgkmcnt(0) vmcnt(0)
	;;#ASMEND
	s_delay_alu instid0(VALU_DEP_1)
	v_cmpx_eq_u32_e32 0, v2
	s_cbranch_execz .LBB4_400
; %bb.399:                              ;   in Loop: Header=BB4_276 Depth=3
	s_bcnt1_i32_b32 s72, s72
	s_delay_alu instid0(SALU_CYCLE_1)
	v_mov_b32_e32 v112, s72
	s_wait_storecnt 0x0
	s_wait_loadcnt_dscnt 0x0
	ds_add_u64 v2, v[112:113]
	s_trap 2
.LBB4_400:                              ;   in Loop: Header=BB4_276 Depth=3
	s_or_b32 exec_lo, exec_lo, s45
	s_trap 2
	ds_load_b64 v[2:3], v2
	s_wait_dscnt 0x0
	v_add_nc_u64_e32 v[48:49], v[48:49], v[52:53]
	s_mov_b32 s45, exec_lo
	s_delay_alu instid0(VALU_DEP_1)
	v_cmpx_lt_u64_e64 v[2:3], v[48:49]
	s_cbranch_execz .LBB4_409
; %bb.401:                              ;   in Loop: Header=BB4_276 Depth=3
	s_mov_b32 s72, 0
	s_mov_b32 s75, 0
                                        ; implicit-def: $sgpr73
                                        ; implicit-def: $sgpr74
	s_branch .LBB4_403
.LBB4_402:                              ;   in Loop: Header=BB4_403 Depth=4
	s_or_b32 exec_lo, exec_lo, s77
	s_delay_alu instid0(SALU_CYCLE_1) | instskip(NEXT) | instid1(SALU_CYCLE_1)
	s_and_b32 s76, exec_lo, s78
	s_or_b32 s72, s76, s72
	s_and_not1_b32 s73, s73, exec_lo
	s_and_b32 s76, s74, exec_lo
	s_delay_alu instid0(SALU_CYCLE_1)
	s_or_b32 s73, s73, s76
	s_and_not1_b32 exec_lo, exec_lo, s72
	s_cbranch_execz .LBB4_407
.LBB4_403:                              ;   Parent Loop BB4_47 Depth=1
                                        ;     Parent Loop BB4_273 Depth=2
                                        ;       Parent Loop BB4_276 Depth=3
                                        ; =>      This Inner Loop Header: Depth=4
	s_add_co_i32 s75, s75, 1
	s_delay_alu instid0(SALU_CYCLE_1) | instskip(SKIP_1) | instid1(SALU_CYCLE_1)
	s_cmp_lg_u32 s75, 0x2710
	s_cselect_b32 s76, -1, 0
	s_and_b32 vcc_lo, exec_lo, s76
	s_cbranch_vccz .LBB4_405
; %bb.404:                              ;   in Loop: Header=BB4_403 Depth=4
	s_mov_b32 s78, -1
	s_or_b32 s74, s74, exec_lo
	s_and_saveexec_b32 s77, s76
	s_cbranch_execz .LBB4_402
	s_branch .LBB4_406
.LBB4_405:                              ;   in Loop: Header=BB4_403 Depth=4
	s_trap 2
	ds_load_b64 v[2:3], v2
	s_and_not1_b32 s76, s76, exec_lo
	s_mov_b32 s75, 0
	s_wait_storecnt 0x0
	s_wait_loadcnt_dscnt 0x0
	flat_load_b32 v2, v[2:3] scope:SCOPE_SYS
	s_wait_loadcnt_dscnt 0x0
	global_inv scope:SCOPE_SYS
	v_cmp_eq_u32_e32 vcc_lo, 0, v2
	s_and_b32 s77, vcc_lo, exec_lo
	s_delay_alu instid0(SALU_CYCLE_1)
	s_or_b32 s76, s76, s77
	s_mov_b32 s78, -1
	s_or_b32 s74, s74, exec_lo
	s_and_saveexec_b32 s77, s76
	s_cbranch_execz .LBB4_402
.LBB4_406:                              ;   in Loop: Header=BB4_403 Depth=4
	s_sleep 1
	s_trap 2
	ds_load_b64 v[2:3], v2
	s_wait_dscnt 0x0
	s_and_not1_b32 s74, s74, exec_lo
	v_cmp_ge_u64_e32 vcc_lo, v[2:3], v[48:49]
	s_or_not1_b32 s78, vcc_lo, exec_lo
	s_branch .LBB4_402
.LBB4_407:                              ;   in Loop: Header=BB4_276 Depth=3
	s_or_b32 exec_lo, exec_lo, s72
	s_and_saveexec_b32 s72, s73
	s_delay_alu instid0(SALU_CYCLE_1)
	s_xor_b32 s72, exec_lo, s72
	s_cbranch_execz .LBB4_409
; %bb.408:                              ;   in Loop: Header=BB4_276 Depth=3
	ds_store_b32 v2, v111
	s_trap 2
.LBB4_409:                              ;   in Loop: Header=BB4_276 Depth=3
	s_or_b32 exec_lo, exec_lo, s45
	;;#ASMSTART
	s_wakeup
	;;#ASMEND
.LBB4_410:                              ;   in Loop: Header=BB4_276 Depth=3
	s_or_b32 exec_lo, exec_lo, s44
.LBB4_411:                              ;   in Loop: Header=BB4_276 Depth=3
	s_and_not1_saveexec_b32 s41, s41
	s_cbranch_execz .LBB4_413
; %bb.412:                              ;   in Loop: Header=BB4_276 Depth=3
	;;#ASMSTART
	s_waitcnt lgkmcnt(0) vmcnt(0)
	;;#ASMEND
	s_barrier_signal -1
	s_barrier_wait -1
.LBB4_413:                              ;   in Loop: Header=BB4_276 Depth=3
	s_or_b32 exec_lo, exec_lo, s41
	v_and_b32_e32 v2, 16, v30
.LBB4_414:                              ;   in Loop: Header=BB4_276 Depth=3
	s_or_b32 exec_lo, exec_lo, s13
	s_delay_alu instid0(VALU_DEP_1) | instskip(SKIP_1) | instid1(SALU_CYCLE_1)
	v_cmp_ne_u32_e32 vcc_lo, 0, v2
	s_xor_b32 s13, s4, -1
	s_and_b32 s41, vcc_lo, s13
	s_delay_alu instid0(SALU_CYCLE_1)
	s_and_saveexec_b32 s13, s41
	s_cbranch_execz .LBB4_416
; %bb.415:                              ;   in Loop: Header=BB4_276 Depth=3
	global_wb scope:SCOPE_SYS
	s_wait_storecnt 0x0
	s_wait_loadcnt_dscnt 0x0
	flat_store_b32 v[38:39], v111 scope:SCOPE_SYS
.LBB4_416:                              ;   in Loop: Header=BB4_276 Depth=3
	s_wait_xcnt 0x0
	s_or_b32 exec_lo, exec_lo, s13
	v_and_b32_e32 v2, 48, v30
	s_mov_b32 s13, exec_lo
	s_delay_alu instid0(VALU_DEP_1)
	v_cmpx_ne_u32_e32 0, v2
	s_cbranch_execz .LBB4_275
; %bb.417:                              ;   in Loop: Header=BB4_276 Depth=3
	v_add_nc_u64_e32 v[114:115], 2, v[114:115]
	global_wb scope:SCOPE_SYS
	s_wait_storecnt 0x0
	s_wait_loadcnt_dscnt 0x0
	flat_store_b64 v[32:33], v[114:115] scope:SCOPE_SYS
	s_branch .LBB4_275
.LBB4_418:                              ;   in Loop: Header=BB4_273 Depth=2
	s_or_b32 exec_lo, exec_lo, s16
.LBB4_419:                              ;   in Loop: Header=BB4_273 Depth=2
	s_delay_alu instid0(SALU_CYCLE_1) | instskip(NEXT) | instid1(SALU_CYCLE_1)
	s_or_b32 exec_lo, exec_lo, s15
	s_mov_b32 s15, exec_lo
	v_cmpx_gt_i32_e32 2, v2
	s_cbranch_execz .LBB4_272
; %bb.420:                              ;   in Loop: Header=BB4_273 Depth=2
	v_cmp_eq_u32_e64 s17, 0, v2
	s_mov_b32 s16, 0
	s_branch .LBB4_422
.LBB4_421:                              ;   in Loop: Header=BB4_422 Depth=3
	s_wait_xcnt 0x0
	s_or_b32 exec_lo, exec_lo, s13
	v_add_nc_u32_e32 v10, v8, v10
	s_mov_b32 s17, 0
	s_and_not1_b32 exec_lo, exec_lo, s16
	s_cbranch_execz .LBB4_271
.LBB4_422:                              ;   Parent Loop BB4_47 Depth=1
                                        ;     Parent Loop BB4_273 Depth=2
                                        ; =>    This Loop Header: Depth=3
                                        ;         Child Loop BB4_428 Depth 4
                                        ;         Child Loop BB4_456 Depth 4
	;; [unrolled: 1-line block ×3, first 2 shown]
	s_delay_alu instid0(VALU_DEP_1) | instskip(SKIP_2) | instid1(VALU_DEP_2)
	v_sub_nc_u32_e32 v2, v40, v10
	v_and_b32_e32 v3, 12, v30
	s_mov_b32 s20, exec_lo
	v_min_i32_e32 v8, v8, v2
	s_delay_alu instid0(VALU_DEP_2)
	v_cmpx_ne_u32_e32 0, v3
	s_cbranch_execz .LBB4_448
; %bb.423:                              ;   in Loop: Header=BB4_422 Depth=3
	v_and_b32_e32 v112, 8, v30
	v_add_nc_u64_e32 v[12:13], 2, v[114:115]
	s_mov_b32 s41, exec_lo
	s_wait_loadcnt_dscnt 0x1
	s_delay_alu instid0(VALU_DEP_2) | instskip(NEXT) | instid1(VALU_DEP_1)
	v_add_nc_u64_e32 v[2:3], v[50:51], v[112:113]
	v_cmpx_lt_u64_e64 v[2:3], v[12:13]
	s_cbranch_execz .LBB4_435
; %bb.424:                              ;   in Loop: Header=BB4_422 Depth=3
	v_and_b32_e32 v2, 64, v30
	s_mov_b32 s44, 0
	s_mov_b32 s74, 0
                                        ; implicit-def: $sgpr45
                                        ; implicit-def: $sgpr72
                                        ; implicit-def: $sgpr73
	s_delay_alu instid0(VALU_DEP_1)
	v_cmp_eq_u32_e32 vcc_lo, 0, v2
	s_branch .LBB4_428
.LBB4_425:                              ;   in Loop: Header=BB4_428 Depth=4
	s_wait_loadcnt_dscnt 0x0
	v_add_nc_u64_e32 v[2:3], v[50:51], v[112:113]
	s_or_b32 s77, s77, exec_lo
	s_delay_alu instid0(VALU_DEP_1)
	v_cmp_ge_u64_e64 s13, v[2:3], v[12:13]
	s_or_not1_b32 s76, s13, exec_lo
.LBB4_426:                              ;   in Loop: Header=BB4_428 Depth=4
	s_or_b32 exec_lo, exec_lo, s79
	s_delay_alu instid0(SALU_CYCLE_1)
	s_and_not1_b32 s13, s73, exec_lo
	s_and_b32 s73, s77, exec_lo
	s_and_not1_b32 s72, s72, exec_lo
	s_and_b32 s76, s76, exec_lo
	s_or_b32 s73, s13, s73
	s_or_b32 s72, s72, s76
.LBB4_427:                              ;   in Loop: Header=BB4_428 Depth=4
	s_or_b32 exec_lo, exec_lo, s75
	s_delay_alu instid0(SALU_CYCLE_1) | instskip(NEXT) | instid1(SALU_CYCLE_1)
	s_and_b32 s13, exec_lo, s72
	s_or_b32 s44, s13, s44
	s_and_not1_b32 s13, s45, exec_lo
	s_and_b32 s45, s73, exec_lo
	s_delay_alu instid0(SALU_CYCLE_1)
	s_or_b32 s45, s13, s45
	s_and_not1_b32 exec_lo, exec_lo, s44
	s_cbranch_execz .LBB4_432
.LBB4_428:                              ;   Parent Loop BB4_47 Depth=1
                                        ;     Parent Loop BB4_273 Depth=2
                                        ;       Parent Loop BB4_422 Depth=3
                                        ; =>      This Inner Loop Header: Depth=4
	s_sleep 1
	s_wait_loadcnt_dscnt 0x0
	flat_load_b64 v[50:51], v[32:33] scope:SCOPE_SYS
	s_or_b32 s73, s73, exec_lo
	s_or_b32 s72, s72, exec_lo
                                        ; implicit-def: $vgpr9
	s_wait_xcnt 0x0
	s_and_saveexec_b32 s75, vcc_lo
	s_cbranch_execz .LBB4_427
; %bb.429:                              ;   in Loop: Header=BB4_428 Depth=4
	s_cmp_lt_i32 s74, 0x270f
	s_mov_b32 s76, -1
	s_cselect_b32 s78, -1, 0
	s_cmp_gt_i32 s74, 0x270e
	s_cbranch_scc0 .LBB4_431
; %bb.430:                              ;   in Loop: Header=BB4_428 Depth=4
	s_trap 2
	ds_load_b64 v[2:3], v2
	s_and_not1_b32 s74, s78, exec_lo
	s_mov_b32 s77, 0
	s_wait_storecnt 0x0
	s_wait_loadcnt_dscnt 0x0
	flat_load_b32 v9, v[2:3] scope:SCOPE_SYS
	s_wait_loadcnt_dscnt 0x0
	global_inv scope:SCOPE_SYS
	v_cmp_eq_u32_e64 s13, 0, v9
	s_and_b32 s13, s13, exec_lo
	s_delay_alu instid0(SALU_CYCLE_1)
	s_or_b32 s78, s74, s13
	s_mov_b32 s74, 0
	s_and_saveexec_b32 s79, s78
	s_cbranch_execz .LBB4_426
	s_branch .LBB4_425
.LBB4_431:                              ;   in Loop: Header=BB4_428 Depth=4
	s_add_co_i32 s74, s74, 1
	s_mov_b32 s77, -1
                                        ; implicit-def: $vgpr9
	s_and_saveexec_b32 s79, s78
	s_cbranch_execz .LBB4_426
	s_branch .LBB4_425
.LBB4_432:                              ;   in Loop: Header=BB4_422 Depth=3
	s_or_b32 exec_lo, exec_lo, s44
	s_xor_b32 s13, s45, -1
	s_delay_alu instid0(SALU_CYCLE_1) | instskip(NEXT) | instid1(SALU_CYCLE_1)
	s_and_saveexec_b32 s44, s13
	s_xor_b32 s13, exec_lo, s44
	s_cbranch_execz .LBB4_434
; %bb.433:                              ;   in Loop: Header=BB4_422 Depth=3
	v_or_b32_e32 v30, 64, v30
	s_wait_storecnt 0x0
	s_wait_loadcnt_dscnt 0x0
	ds_store_b32 v2, v9
	s_trap 2
.LBB4_434:                              ;   in Loop: Header=BB4_422 Depth=3
	s_or_b32 exec_lo, exec_lo, s13
.LBB4_435:                              ;   in Loop: Header=BB4_422 Depth=3
	s_delay_alu instid0(SALU_CYCLE_1) | instskip(SKIP_3) | instid1(VALU_DEP_1)
	s_or_b32 exec_lo, exec_lo, s41
	v_and_b32_e32 v2, 0x108, v30
	s_mov_b32 s13, exec_lo
	;;#ASMSTART
	s_wakeup
	;;#ASMEND
                                        ; implicit-def: $vgpr14_vgpr15
	v_cmpx_ne_u32_e32 0x108, v2
	s_xor_b32 s13, exec_lo, s13
; %bb.436:                              ;   in Loop: Header=BB4_422 Depth=3
	v_dual_mov_b32 v15, v113 :: v_dual_bitop2_b32 v14, 7, v114 bitop3:0x40
                                        ; implicit-def: $vgpr114_vgpr115
; %bb.437:                              ;   in Loop: Header=BB4_422 Depth=3
	s_and_not1_saveexec_b32 s13, s13
	s_cbranch_execz .LBB4_439
; %bb.438:                              ;   in Loop: Header=BB4_422 Depth=3
	v_dual_ashrrev_i32 v9, 31, v8 :: v_dual_bitop2_b32 v14, 7, v114 bitop3:0x40
	v_mov_b32_e32 v15, v113
	s_delay_alu instid0(VALU_DEP_2) | instskip(NEXT) | instid1(VALU_DEP_3)
	v_mad_nc_u64_u32 v[2:3], v14, 24, v[6:7]
	v_lshlrev_b64_e32 v[16:17], 3, v[8:9]
	flat_store_b64 v[2:3], v[16:17] offset:8
.LBB4_439:                              ;   in Loop: Header=BB4_422 Depth=3
	s_wait_xcnt 0x0
	s_or_b32 exec_lo, exec_lo, s13
	v_and_b32_e32 v2, 0x100, v30
	s_mov_b32 s13, -1
	s_mov_b32 s41, exec_lo
                                        ; implicit-def: $vgpr16_vgpr17
	s_delay_alu instid0(VALU_DEP_1)
	v_cmpx_ne_u32_e32 0, v2
	s_cbranch_execz .LBB4_443
; %bb.440:                              ;   in Loop: Header=BB4_422 Depth=3
	v_mad_nc_u64_u32 v[18:19], v14, 24, v[6:7]
	s_mov_b32 s44, exec_lo
                                        ; implicit-def: $vgpr16_vgpr17
	s_delay_alu instid0(VALU_DEP_1)
	v_mad_u32 v19, v15, 24, v19
	flat_load_b32 v2, v[18:19]
	s_wait_loadcnt_dscnt 0x0
	v_cmp_ne_u32_e32 vcc_lo, 1, v2
	s_wait_xcnt 0x0
	v_cmpx_eq_u32_e32 1, v2
	s_cbranch_execz .LBB4_442
; %bb.441:                              ;   in Loop: Header=BB4_422 Depth=3
	flat_load_b32 v2, v[18:19] offset:4 scope:SCOPE_SYS
	s_wait_loadcnt_dscnt 0x0
	v_ashrrev_i32_e32 v3, 31, v2
	s_delay_alu instid0(VALU_DEP_1)
	v_lshrrev_b64 v[16:17], 3, v[2:3]
.LBB4_442:                              ;   in Loop: Header=BB4_422 Depth=3
	s_wait_xcnt 0x0
	s_or_b32 exec_lo, exec_lo, s44
	s_delay_alu instid0(SALU_CYCLE_1)
	s_or_not1_b32 s13, vcc_lo, exec_lo
.LBB4_443:                              ;   in Loop: Header=BB4_422 Depth=3
	s_or_b32 exec_lo, exec_lo, s41
	s_and_saveexec_b32 s41, s13
; %bb.444:                              ;   in Loop: Header=BB4_422 Depth=3
	v_mul_u64_e32 v[16:17], v[14:15], v[34:35]
; %bb.445:                              ;   in Loop: Header=BB4_422 Depth=3
	s_or_b32 exec_lo, exec_lo, s41
	v_cmp_eq_u32_e32 vcc_lo, 0, v112
	v_and_b32_e32 v11, 0x2000, v30
	s_delay_alu instid0(VALU_DEP_3) | instskip(SKIP_2) | instid1(VALU_DEP_1)
	v_lshl_add_u64 v[2:3], v[16:17], 3, v[36:37]
	s_mov_b32 s13, exec_lo
	v_cndmask_b32_e32 v9, 0xc8, v120, vcc_lo
	v_add_nc_u32_e32 v9, v0, v9
	ds_store_b64 v9, v[2:3] offset:584
	v_cmpx_ne_u32_e32 0, v11
	s_cbranch_execz .LBB4_447
; %bb.446:                              ;   in Loop: Header=BB4_422 Depth=3
	ds_load_b64 v[2:3], v0 offset:872
	s_wait_dscnt 0x0
	v_add_nc_u64_e32 v[2:3], 1, v[2:3]
	ds_store_b64 v0, v[2:3] offset:872
.LBB4_447:                              ;   in Loop: Header=BB4_422 Depth=3
	s_or_b32 exec_lo, exec_lo, s13
	v_mov_b64_e32 v[114:115], v[12:13]
.LBB4_448:                              ;   in Loop: Header=BB4_422 Depth=3
	s_or_b32 exec_lo, exec_lo, s20
	s_xor_b32 s13, s17, -1
	s_delay_alu instid0(SALU_CYCLE_1) | instskip(NEXT) | instid1(SALU_CYCLE_1)
	s_and_b32 s13, exec_lo, s13
	s_or_b32 s16, s13, s16
	s_and_saveexec_b32 s13, s2
	s_cbranch_execz .LBB4_467
; %bb.449:                              ;   in Loop: Header=BB4_422 Depth=3
	s_and_saveexec_b32 s17, s3
	s_delay_alu instid0(SALU_CYCLE_1)
	s_xor_b32 s17, exec_lo, s17
	s_cbranch_execz .LBB4_464
; %bb.450:                              ;   in Loop: Header=BB4_422 Depth=3
	s_and_saveexec_b32 s20, s6
	s_cbranch_execz .LBB4_463
; %bb.451:                              ;   in Loop: Header=BB4_422 Depth=3
	s_mov_b32 s44, exec_lo
	s_mov_b32 s41, exec_lo
	v_mbcnt_lo_u32_b32 v2, s44, 0
	global_wb scope:SCOPE_DEV
	s_wait_storecnt 0x0
	s_wait_loadcnt_dscnt 0x0
	global_inv scope:SCOPE_DEV
	v_cmpx_eq_u32_e32 0, v2
	s_cbranch_execz .LBB4_453
; %bb.452:                              ;   in Loop: Header=BB4_422 Depth=3
	s_bcnt1_i32_b32 s44, s44
	s_delay_alu instid0(SALU_CYCLE_1)
	v_mov_b32_e32 v112, s44
	s_wait_loadcnt 0x0
	ds_add_u64 v2, v[112:113]
	s_trap 2
.LBB4_453:                              ;   in Loop: Header=BB4_422 Depth=3
	s_or_b32 exec_lo, exec_lo, s41
	s_trap 2
	ds_load_b64 v[2:3], v2
	s_wait_dscnt 0x0
	v_add_nc_u64_e32 v[48:49], v[48:49], v[52:53]
	s_mov_b32 s41, exec_lo
	s_delay_alu instid0(VALU_DEP_1)
	v_cmpx_lt_u64_e64 v[2:3], v[48:49]
	s_cbranch_execz .LBB4_462
; %bb.454:                              ;   in Loop: Header=BB4_422 Depth=3
	s_mov_b32 s44, 0
	s_mov_b32 s73, 0
                                        ; implicit-def: $sgpr45
                                        ; implicit-def: $sgpr72
	s_branch .LBB4_456
.LBB4_455:                              ;   in Loop: Header=BB4_456 Depth=4
	s_or_b32 exec_lo, exec_lo, s75
	s_delay_alu instid0(SALU_CYCLE_1) | instskip(NEXT) | instid1(SALU_CYCLE_1)
	s_and_b32 s74, exec_lo, s76
	s_or_b32 s44, s74, s44
	s_and_not1_b32 s45, s45, exec_lo
	s_and_b32 s74, s72, exec_lo
	s_delay_alu instid0(SALU_CYCLE_1)
	s_or_b32 s45, s45, s74
	s_and_not1_b32 exec_lo, exec_lo, s44
	s_cbranch_execz .LBB4_460
.LBB4_456:                              ;   Parent Loop BB4_47 Depth=1
                                        ;     Parent Loop BB4_273 Depth=2
                                        ;       Parent Loop BB4_422 Depth=3
                                        ; =>      This Inner Loop Header: Depth=4
	s_add_co_i32 s73, s73, 1
	s_delay_alu instid0(SALU_CYCLE_1) | instskip(SKIP_1) | instid1(SALU_CYCLE_1)
	s_cmp_lg_u32 s73, 0x2710
	s_cselect_b32 s74, -1, 0
	s_and_b32 vcc_lo, exec_lo, s74
	s_cbranch_vccz .LBB4_458
; %bb.457:                              ;   in Loop: Header=BB4_456 Depth=4
	s_mov_b32 s76, -1
	s_or_b32 s72, s72, exec_lo
	s_and_saveexec_b32 s75, s74
	s_cbranch_execz .LBB4_455
	s_branch .LBB4_459
.LBB4_458:                              ;   in Loop: Header=BB4_456 Depth=4
	s_trap 2
	ds_load_b64 v[2:3], v2
	s_and_not1_b32 s74, s74, exec_lo
	s_mov_b32 s73, 0
	s_wait_loadcnt_dscnt 0x0
	flat_load_b32 v2, v[2:3] scope:SCOPE_SYS
	s_wait_loadcnt_dscnt 0x0
	global_inv scope:SCOPE_SYS
	v_cmp_eq_u32_e32 vcc_lo, 0, v2
	s_and_b32 s75, vcc_lo, exec_lo
	s_delay_alu instid0(SALU_CYCLE_1)
	s_or_b32 s74, s74, s75
	s_mov_b32 s76, -1
	s_or_b32 s72, s72, exec_lo
	s_and_saveexec_b32 s75, s74
	s_cbranch_execz .LBB4_455
.LBB4_459:                              ;   in Loop: Header=BB4_456 Depth=4
	s_sleep 1
	s_trap 2
	ds_load_b64 v[2:3], v2
	s_wait_dscnt 0x0
	s_and_not1_b32 s72, s72, exec_lo
	v_cmp_ge_u64_e32 vcc_lo, v[2:3], v[48:49]
	s_or_not1_b32 s76, vcc_lo, exec_lo
	s_branch .LBB4_455
.LBB4_460:                              ;   in Loop: Header=BB4_422 Depth=3
	s_or_b32 exec_lo, exec_lo, s44
	s_and_saveexec_b32 s44, s45
	s_delay_alu instid0(SALU_CYCLE_1)
	s_xor_b32 s44, exec_lo, s44
	s_cbranch_execz .LBB4_462
; %bb.461:                              ;   in Loop: Header=BB4_422 Depth=3
	ds_store_b32 v2, v111
	s_trap 2
.LBB4_462:                              ;   in Loop: Header=BB4_422 Depth=3
	s_or_b32 exec_lo, exec_lo, s41
	;;#ASMSTART
	s_wakeup
	;;#ASMEND
.LBB4_463:                              ;   in Loop: Header=BB4_422 Depth=3
	s_or_b32 exec_lo, exec_lo, s20
.LBB4_464:                              ;   in Loop: Header=BB4_422 Depth=3
	s_and_not1_saveexec_b32 s17, s17
	s_cbranch_execz .LBB4_466
; %bb.465:                              ;   in Loop: Header=BB4_422 Depth=3
	global_wb scope:SCOPE_DEV
	s_wait_storecnt 0x0
	s_wait_loadcnt_dscnt 0x0
	global_inv scope:SCOPE_DEV
	s_barrier_signal -1
	s_barrier_wait -1
.LBB4_466:                              ;   in Loop: Header=BB4_422 Depth=3
	s_or_b32 exec_lo, exec_lo, s17
.LBB4_467:                              ;   in Loop: Header=BB4_422 Depth=3
	s_delay_alu instid0(SALU_CYCLE_1) | instskip(SKIP_1) | instid1(SALU_CYCLE_1)
	s_or_b32 exec_lo, exec_lo, s13
                                        ; implicit-def: $vgpr2
	s_and_saveexec_b32 s13, s59
	s_xor_b32 s13, exec_lo, s13
	s_cbranch_execz .LBB4_479
; %bb.468:                              ;   in Loop: Header=BB4_422 Depth=3
	s_and_saveexec_b32 s17, s3
	s_delay_alu instid0(SALU_CYCLE_1)
	s_xor_b32 s17, exec_lo, s17
	s_cbranch_execz .LBB4_484
; %bb.469:                              ;   in Loop: Header=BB4_422 Depth=3
	s_and_saveexec_b32 s20, s6
	s_cbranch_execz .LBB4_483
; %bb.470:                              ;   in Loop: Header=BB4_422 Depth=3
	s_mov_b32 s44, exec_lo
	s_mov_b32 s41, exec_lo
	v_mbcnt_lo_u32_b32 v2, s44, 0
	;;#ASMSTART
	s_waitcnt lgkmcnt(0) vmcnt(0)
	;;#ASMEND
	s_delay_alu instid0(VALU_DEP_1)
	v_cmpx_eq_u32_e32 0, v2
	s_cbranch_execz .LBB4_472
; %bb.471:                              ;   in Loop: Header=BB4_422 Depth=3
	s_bcnt1_i32_b32 s44, s44
	s_delay_alu instid0(SALU_CYCLE_1)
	v_mov_b32_e32 v112, s44
	s_wait_storecnt 0x0
	s_wait_loadcnt_dscnt 0x0
	ds_add_u64 v2, v[112:113]
	s_trap 2
.LBB4_472:                              ;   in Loop: Header=BB4_422 Depth=3
	s_or_b32 exec_lo, exec_lo, s41
	s_trap 2
	ds_load_b64 v[2:3], v2
	s_wait_dscnt 0x0
	v_add_nc_u64_e32 v[48:49], v[48:49], v[52:53]
	s_mov_b32 s41, exec_lo
	s_delay_alu instid0(VALU_DEP_1)
	v_cmpx_lt_u64_e64 v[2:3], v[48:49]
	s_cbranch_execz .LBB4_482
; %bb.473:                              ;   in Loop: Header=BB4_422 Depth=3
	s_mov_b32 s44, 0
	s_mov_b32 s73, 0
                                        ; implicit-def: $sgpr45
                                        ; implicit-def: $sgpr72
	s_branch .LBB4_475
.LBB4_474:                              ;   in Loop: Header=BB4_475 Depth=4
	s_or_b32 exec_lo, exec_lo, s75
	s_delay_alu instid0(SALU_CYCLE_1) | instskip(NEXT) | instid1(SALU_CYCLE_1)
	s_and_b32 s74, exec_lo, s76
	s_or_b32 s44, s74, s44
	s_and_not1_b32 s45, s45, exec_lo
	s_and_b32 s74, s72, exec_lo
	s_delay_alu instid0(SALU_CYCLE_1)
	s_or_b32 s45, s45, s74
	s_and_not1_b32 exec_lo, exec_lo, s44
	s_cbranch_execz .LBB4_480
.LBB4_475:                              ;   Parent Loop BB4_47 Depth=1
                                        ;     Parent Loop BB4_273 Depth=2
                                        ;       Parent Loop BB4_422 Depth=3
                                        ; =>      This Inner Loop Header: Depth=4
	s_add_co_i32 s73, s73, 1
	s_delay_alu instid0(SALU_CYCLE_1) | instskip(SKIP_1) | instid1(SALU_CYCLE_1)
	s_cmp_lg_u32 s73, 0x2710
	s_cselect_b32 s74, -1, 0
	s_and_b32 vcc_lo, exec_lo, s74
	s_cbranch_vccz .LBB4_477
; %bb.476:                              ;   in Loop: Header=BB4_475 Depth=4
	s_mov_b32 s76, -1
	s_or_b32 s72, s72, exec_lo
	s_and_saveexec_b32 s75, s74
	s_cbranch_execz .LBB4_474
	s_branch .LBB4_478
.LBB4_477:                              ;   in Loop: Header=BB4_475 Depth=4
	s_trap 2
	ds_load_b64 v[2:3], v2
	s_and_not1_b32 s74, s74, exec_lo
	s_mov_b32 s73, 0
	s_wait_storecnt 0x0
	s_wait_loadcnt_dscnt 0x0
	flat_load_b32 v2, v[2:3] scope:SCOPE_SYS
	s_wait_loadcnt_dscnt 0x0
	global_inv scope:SCOPE_SYS
	v_cmp_eq_u32_e32 vcc_lo, 0, v2
	s_and_b32 s75, vcc_lo, exec_lo
	s_delay_alu instid0(SALU_CYCLE_1)
	s_or_b32 s74, s74, s75
	s_mov_b32 s76, -1
	s_or_b32 s72, s72, exec_lo
	s_and_saveexec_b32 s75, s74
	s_cbranch_execz .LBB4_474
.LBB4_478:                              ;   in Loop: Header=BB4_475 Depth=4
	s_sleep 1
	s_trap 2
	ds_load_b64 v[2:3], v2
	s_wait_dscnt 0x0
	s_and_not1_b32 s72, s72, exec_lo
	v_cmp_ge_u64_e32 vcc_lo, v[2:3], v[48:49]
	s_or_not1_b32 s76, vcc_lo, exec_lo
	s_branch .LBB4_474
.LBB4_479:                              ;   in Loop: Header=BB4_422 Depth=3
	s_and_not1_saveexec_b32 s17, s13
	s_cbranch_execnz .LBB4_487
	s_branch .LBB4_490
.LBB4_480:                              ;   in Loop: Header=BB4_422 Depth=3
	s_or_b32 exec_lo, exec_lo, s44
	s_and_saveexec_b32 s44, s45
	s_delay_alu instid0(SALU_CYCLE_1)
	s_xor_b32 s44, exec_lo, s44
	s_cbranch_execz .LBB4_482
; %bb.481:                              ;   in Loop: Header=BB4_422 Depth=3
	ds_store_b32 v2, v111
	s_trap 2
.LBB4_482:                              ;   in Loop: Header=BB4_422 Depth=3
	s_or_b32 exec_lo, exec_lo, s41
	;;#ASMSTART
	s_wakeup
	;;#ASMEND
.LBB4_483:                              ;   in Loop: Header=BB4_422 Depth=3
	s_or_b32 exec_lo, exec_lo, s20
.LBB4_484:                              ;   in Loop: Header=BB4_422 Depth=3
	s_and_not1_saveexec_b32 s17, s17
	s_cbranch_execz .LBB4_486
; %bb.485:                              ;   in Loop: Header=BB4_422 Depth=3
	;;#ASMSTART
	s_waitcnt lgkmcnt(0) vmcnt(0)
	;;#ASMEND
	s_barrier_signal -1
	s_barrier_wait -1
.LBB4_486:                              ;   in Loop: Header=BB4_422 Depth=3
	s_or_b32 exec_lo, exec_lo, s17
	v_and_b32_e32 v2, 16, v30
	s_and_not1_saveexec_b32 s17, s13
	s_cbranch_execz .LBB4_490
.LBB4_487:                              ;   in Loop: Header=BB4_422 Depth=3
	s_trap 2
	ds_load_b32 v2, v3
	v_cmp_lt_i32_e32 vcc_lo, 0, v8
	s_wait_dscnt 0x0
	v_readfirstlane_b32 s13, v2
	v_and_b32_e32 v2, 16, v30
	s_cmp_eq_u32 s13, 0
	s_delay_alu instid0(VALU_DEP_1) | instskip(SKIP_3) | instid1(SALU_CYCLE_1)
	v_cmp_ne_u32_e64 s13, 0, v2
	s_cselect_b32 s20, -1, 0
	v_and_b32_e32 v2, 16, v30
	s_and_b32 s20, vcc_lo, s20
	s_and_b32 s20, s13, s20
	s_delay_alu instid0(SALU_CYCLE_1)
	s_and_saveexec_b32 s13, s20
	s_cbranch_execz .LBB4_489
; %bb.488:                              ;   in Loop: Header=BB4_422 Depth=3
	v_mov_b32_e32 v2, 1
	global_wb scope:SCOPE_SYS
	s_wait_loadcnt 0x0
	s_wait_storecnt 0x0
	global_inv scope:SCOPE_SYS
.LBB4_489:                              ;   in Loop: Header=BB4_422 Depth=3
	s_or_b32 exec_lo, exec_lo, s13
.LBB4_490:                              ;   in Loop: Header=BB4_422 Depth=3
	s_delay_alu instid0(SALU_CYCLE_1) | instskip(NEXT) | instid1(VALU_DEP_1)
	s_or_b32 exec_lo, exec_lo, s17
	v_cmp_ne_u32_e32 vcc_lo, 0, v2
	s_xor_b32 s13, s4, -1
	s_delay_alu instid0(SALU_CYCLE_1) | instskip(NEXT) | instid1(SALU_CYCLE_1)
	s_and_b32 s17, vcc_lo, s13
	s_and_saveexec_b32 s13, s17
	s_cbranch_execz .LBB4_492
; %bb.491:                              ;   in Loop: Header=BB4_422 Depth=3
	global_wb scope:SCOPE_SYS
	s_wait_storecnt 0x0
	s_wait_loadcnt_dscnt 0x0
	flat_store_b32 v[38:39], v111 scope:SCOPE_SYS
.LBB4_492:                              ;   in Loop: Header=BB4_422 Depth=3
	s_wait_xcnt 0x0
	s_or_b32 exec_lo, exec_lo, s13
	v_and_b32_e32 v2, 48, v30
	s_mov_b32 s13, exec_lo
	s_delay_alu instid0(VALU_DEP_1)
	v_cmpx_ne_u32_e32 0, v2
	s_cbranch_execz .LBB4_421
; %bb.493:                              ;   in Loop: Header=BB4_422 Depth=3
	v_add_nc_u64_e32 v[114:115], 2, v[114:115]
	global_wb scope:SCOPE_SYS
	s_wait_storecnt 0x0
	s_wait_loadcnt_dscnt 0x0
	flat_store_b64 v[32:33], v[114:115] scope:SCOPE_SYS
	s_branch .LBB4_421
.LBB4_494:                              ;   in Loop: Header=BB4_47 Depth=1
	v_mul_u64_e32 v[8:9], s[18:19], v[26:27]
	v_mov_b32_e32 v42, 0
	s_delay_alu instid0(VALU_DEP_2) | instskip(NEXT) | instid1(VALU_DEP_1)
	v_sub_nc_u64_e32 v[10:11], v[116:117], v[8:9]
	v_min_i64 v[10:11], v[26:27], v[10:11]
	s_delay_alu instid0(VALU_DEP_1) | instskip(SKIP_1) | instid1(VALU_DEP_2)
	v_max_i32_e32 v122, 0, v10
	v_cmp_lt_i32_e32 vcc_lo, 0, v10
	v_add_nc_u32_e32 v2, 31, v122
	s_and_b32 s13, s61, vcc_lo
	s_delay_alu instid0(VALU_DEP_1) | instskip(NEXT) | instid1(VALU_DEP_1)
	v_lshrrev_b32_e32 v2, 1, v2
	v_and_b32_e32 v3, 0x3ffffff0, v2
	s_delay_alu instid0(VALU_DEP_1)
	v_dual_mov_b32 v2, 0 :: v_dual_max_i32 v40, s57, v3
	s_and_saveexec_b32 s41, s13
	s_cbranch_execz .LBB4_719
; %bb.495:                              ;   in Loop: Header=BB4_47 Depth=1
	v_add_nc_u64_e32 v[8:9], v[8:9], v[118:119]
	v_mov_b32_e32 v42, 0
	s_mov_b32 s74, 1
	s_mov_b32 s73, -1
	s_mov_b32 s72, 0
	s_delay_alu instid0(VALU_DEP_2)
	v_lshlrev_b64_e32 v[44:45], 3, v[8:9]
	s_branch .LBB4_497
.LBB4_496:                              ;   in Loop: Header=BB4_497 Depth=2
	s_wait_xcnt 0x0
	s_or_b32 exec_lo, exec_lo, s13
	v_dual_add_nc_u32 v42, v40, v42 :: v_dual_mov_b32 v2, s74
	s_xor_b32 s13, s73, -1
	s_mov_b32 s73, 0
	s_mov_b32 s74, 2
	s_delay_alu instid0(VALU_DEP_1) | instskip(SKIP_1) | instid1(SALU_CYCLE_1)
	v_cmp_ge_i32_e32 vcc_lo, v42, v122
	s_or_b32 s13, s13, vcc_lo
	s_and_b32 s13, exec_lo, s13
	s_delay_alu instid0(SALU_CYCLE_1) | instskip(NEXT) | instid1(SALU_CYCLE_1)
	s_or_b32 s72, s13, s72
	s_and_not1_b32 exec_lo, exec_lo, s72
	s_cbranch_execz .LBB4_718
.LBB4_497:                              ;   Parent Loop BB4_47 Depth=1
                                        ; =>  This Loop Header: Depth=2
                                        ;       Child Loop BB4_505 Depth 3
                                        ;       Child Loop BB4_533 Depth 3
	;; [unrolled: 1-line block ×5, first 2 shown]
                                        ;         Child Loop BB4_597 Depth 4
                                        ;       Child Loop BB4_611 Depth 3
                                        ;       Child Loop BB4_621 Depth 3
                                        ;         Child Loop BB4_622 Depth 4
                                        ;       Child Loop BB4_642 Depth 3
                                        ;       Child Loop BB4_652 Depth 3
	;; [unrolled: 1-line block ×6, first 2 shown]
	s_and_saveexec_b32 s13, s0
	s_cbranch_execz .LBB4_499
; %bb.498:                              ;   in Loop: Header=BB4_497 Depth=2
	s_trap 2
	ds_load_b64 v[12:13], v2
	ds_load_2addr_b64 v[8:11], v2 offset1:1
	s_wait_dscnt 0x1
	v_cmp_ne_u64_e32 vcc_lo, 0, v[12:13]
	v_ashrrev_i32_e32 v43, 31, v42
	v_add_nc_u64_e32 v[16:17], v[12:13], v[44:45]
	s_wait_dscnt 0x0
	v_add_nc_u64_e32 v[8:9], v[8:9], v[44:45]
	v_add_nc_u64_e32 v[10:11], v[10:11], v[44:45]
	v_lshlrev_b64_e32 v[14:15], 3, v[42:43]
	s_delay_alu instid0(VALU_DEP_1) | instskip(NEXT) | instid1(VALU_DEP_4)
	v_add_nc_u64_e32 v[16:17], v[16:17], v[14:15]
	v_add_nc_u64_e32 v[8:9], v[8:9], v[14:15]
	s_delay_alu instid0(VALU_DEP_4) | instskip(NEXT) | instid1(VALU_DEP_3)
	v_add_nc_u64_e32 v[10:11], v[10:11], v[14:15]
	v_dual_cndmask_b32 v13, 0, v17 :: v_dual_cndmask_b32 v12, 0, v16
	ds_store_b64 v2, v[8:9]
	ds_store_b64 v2, v[10:11]
	;; [unrolled: 1-line block ×3, first 2 shown]
.LBB4_499:                              ;   in Loop: Header=BB4_497 Depth=2
	s_or_b32 exec_lo, exec_lo, s13
	v_sub_nc_u32_e32 v2, v122, v42
	v_and_b32_e32 v3, 12, v30
	s_mov_b32 s14, exec_lo
	s_delay_alu instid0(VALU_DEP_2) | instskip(NEXT) | instid1(VALU_DEP_2)
	v_min_i32_e32 v40, v40, v2
	v_cmpx_ne_u32_e32 0, v3
	s_cbranch_execz .LBB4_525
; %bb.500:                              ;   in Loop: Header=BB4_497 Depth=2
	v_and_b32_e32 v112, 8, v30
	v_add_nc_u64_e32 v[8:9], 2, v[114:115]
	s_mov_b32 s15, exec_lo
	s_wait_loadcnt_dscnt 0x1
	s_delay_alu instid0(VALU_DEP_2) | instskip(NEXT) | instid1(VALU_DEP_1)
	v_add_nc_u64_e32 v[10:11], v[50:51], v[112:113]
	v_cmpx_lt_u64_e64 v[10:11], v[8:9]
	s_cbranch_execz .LBB4_512
; %bb.501:                              ;   in Loop: Header=BB4_497 Depth=2
	v_and_b32_e32 v2, 64, v30
	s_mov_b32 s16, 0
	s_mov_b32 s45, 0
                                        ; implicit-def: $sgpr17
                                        ; implicit-def: $sgpr20
                                        ; implicit-def: $sgpr44
	s_delay_alu instid0(VALU_DEP_1)
	v_cmp_eq_u32_e32 vcc_lo, 0, v2
	s_branch .LBB4_505
.LBB4_502:                              ;   in Loop: Header=BB4_505 Depth=3
	s_wait_loadcnt_dscnt 0x0
	v_add_nc_u64_e32 v[12:13], v[50:51], v[112:113]
	s_or_b32 s77, s77, exec_lo
	s_delay_alu instid0(VALU_DEP_1)
	v_cmp_ge_u64_e64 s13, v[12:13], v[8:9]
	s_or_not1_b32 s76, s13, exec_lo
.LBB4_503:                              ;   in Loop: Header=BB4_505 Depth=3
	s_or_b32 exec_lo, exec_lo, s79
	s_delay_alu instid0(SALU_CYCLE_1)
	s_and_not1_b32 s13, s44, exec_lo
	s_and_b32 s44, s77, exec_lo
	s_and_not1_b32 s20, s20, exec_lo
	s_and_b32 s76, s76, exec_lo
	s_or_b32 s44, s13, s44
	s_or_b32 s20, s20, s76
.LBB4_504:                              ;   in Loop: Header=BB4_505 Depth=3
	s_or_b32 exec_lo, exec_lo, s75
	s_delay_alu instid0(SALU_CYCLE_1) | instskip(NEXT) | instid1(SALU_CYCLE_1)
	s_and_b32 s13, exec_lo, s20
	s_or_b32 s16, s13, s16
	s_and_not1_b32 s13, s17, exec_lo
	s_and_b32 s17, s44, exec_lo
	s_delay_alu instid0(SALU_CYCLE_1)
	s_or_b32 s17, s13, s17
	s_and_not1_b32 exec_lo, exec_lo, s16
	s_cbranch_execz .LBB4_509
.LBB4_505:                              ;   Parent Loop BB4_47 Depth=1
                                        ;     Parent Loop BB4_497 Depth=2
                                        ; =>    This Inner Loop Header: Depth=3
	s_sleep 1
	s_wait_loadcnt_dscnt 0x0
	flat_load_b64 v[50:51], v[32:33] scope:SCOPE_SYS
	s_or_b32 s44, s44, exec_lo
	s_or_b32 s20, s20, exec_lo
                                        ; implicit-def: $vgpr10
	s_wait_xcnt 0x0
	s_and_saveexec_b32 s75, vcc_lo
	s_cbranch_execz .LBB4_504
; %bb.506:                              ;   in Loop: Header=BB4_505 Depth=3
	s_cmp_lt_i32 s45, 0x270f
	s_mov_b32 s76, -1
	s_cselect_b32 s78, -1, 0
	s_cmp_gt_i32 s45, 0x270e
	s_cbranch_scc0 .LBB4_508
; %bb.507:                              ;   in Loop: Header=BB4_505 Depth=3
	s_trap 2
	ds_load_b64 v[10:11], v2
	s_and_not1_b32 s45, s78, exec_lo
	s_mov_b32 s77, 0
	s_wait_storecnt 0x0
	s_wait_loadcnt_dscnt 0x0
	flat_load_b32 v10, v[10:11] scope:SCOPE_SYS
	s_wait_loadcnt_dscnt 0x0
	global_inv scope:SCOPE_SYS
	v_cmp_eq_u32_e64 s13, 0, v10
	s_and_b32 s13, s13, exec_lo
	s_delay_alu instid0(SALU_CYCLE_1)
	s_or_b32 s78, s45, s13
	s_mov_b32 s45, 0
	s_and_saveexec_b32 s79, s78
	s_cbranch_execz .LBB4_503
	s_branch .LBB4_502
.LBB4_508:                              ;   in Loop: Header=BB4_505 Depth=3
	s_add_co_i32 s45, s45, 1
	s_mov_b32 s77, -1
                                        ; implicit-def: $vgpr10
	s_and_saveexec_b32 s79, s78
	s_cbranch_execz .LBB4_503
	s_branch .LBB4_502
.LBB4_509:                              ;   in Loop: Header=BB4_497 Depth=2
	s_or_b32 exec_lo, exec_lo, s16
	s_xor_b32 s13, s17, -1
	s_delay_alu instid0(SALU_CYCLE_1) | instskip(NEXT) | instid1(SALU_CYCLE_1)
	s_and_saveexec_b32 s16, s13
	s_xor_b32 s13, exec_lo, s16
	s_cbranch_execz .LBB4_511
; %bb.510:                              ;   in Loop: Header=BB4_497 Depth=2
	v_or_b32_e32 v30, 64, v30
	s_wait_storecnt 0x0
	s_wait_loadcnt_dscnt 0x0
	ds_store_b32 v2, v10
	s_trap 2
.LBB4_511:                              ;   in Loop: Header=BB4_497 Depth=2
	s_or_b32 exec_lo, exec_lo, s13
.LBB4_512:                              ;   in Loop: Header=BB4_497 Depth=2
	s_delay_alu instid0(SALU_CYCLE_1) | instskip(SKIP_3) | instid1(VALU_DEP_1)
	s_or_b32 exec_lo, exec_lo, s15
	v_and_b32_e32 v2, 0x108, v30
	s_mov_b32 s13, exec_lo
	;;#ASMSTART
	s_wakeup
	;;#ASMEND
                                        ; implicit-def: $vgpr10_vgpr11
	v_cmpx_ne_u32_e32 0x108, v2
	s_xor_b32 s13, exec_lo, s13
; %bb.513:                              ;   in Loop: Header=BB4_497 Depth=2
	v_dual_mov_b32 v11, v113 :: v_dual_bitop2_b32 v10, 7, v114 bitop3:0x40
                                        ; implicit-def: $vgpr114_vgpr115
; %bb.514:                              ;   in Loop: Header=BB4_497 Depth=2
	s_and_not1_saveexec_b32 s13, s13
	s_cbranch_execz .LBB4_516
; %bb.515:                              ;   in Loop: Header=BB4_497 Depth=2
	v_dual_ashrrev_i32 v41, 31, v40 :: v_dual_bitop2_b32 v10, 7, v114 bitop3:0x40
	v_mov_b32_e32 v11, v113
	s_delay_alu instid0(VALU_DEP_2) | instskip(NEXT) | instid1(VALU_DEP_3)
	v_mad_nc_u64_u32 v[12:13], v10, 24, v[6:7]
	v_lshlrev_b64_e32 v[14:15], 3, v[40:41]
	flat_store_b64 v[12:13], v[14:15] offset:8
.LBB4_516:                              ;   in Loop: Header=BB4_497 Depth=2
	s_wait_xcnt 0x0
	s_or_b32 exec_lo, exec_lo, s13
	v_and_b32_e32 v2, 0x100, v30
	s_mov_b32 s13, -1
	s_mov_b32 s15, exec_lo
                                        ; implicit-def: $vgpr12_vgpr13
	s_delay_alu instid0(VALU_DEP_1)
	v_cmpx_ne_u32_e32 0, v2
	s_cbranch_execz .LBB4_520
; %bb.517:                              ;   in Loop: Header=BB4_497 Depth=2
	v_mad_nc_u64_u32 v[14:15], v10, 24, v[6:7]
	s_mov_b32 s16, exec_lo
                                        ; implicit-def: $vgpr12_vgpr13
	s_delay_alu instid0(VALU_DEP_1)
	v_mad_u32 v15, v11, 24, v15
	flat_load_b32 v2, v[14:15]
	s_wait_loadcnt_dscnt 0x0
	v_cmp_ne_u32_e32 vcc_lo, 1, v2
	s_wait_xcnt 0x0
	v_cmpx_eq_u32_e32 1, v2
	s_cbranch_execz .LBB4_519
; %bb.518:                              ;   in Loop: Header=BB4_497 Depth=2
	flat_load_b32 v12, v[14:15] offset:4 scope:SCOPE_SYS
	s_wait_loadcnt_dscnt 0x0
	v_ashrrev_i32_e32 v13, 31, v12
	s_delay_alu instid0(VALU_DEP_1)
	v_lshrrev_b64 v[12:13], 3, v[12:13]
.LBB4_519:                              ;   in Loop: Header=BB4_497 Depth=2
	s_wait_xcnt 0x0
	s_or_b32 exec_lo, exec_lo, s16
	s_delay_alu instid0(SALU_CYCLE_1)
	s_or_not1_b32 s13, vcc_lo, exec_lo
.LBB4_520:                              ;   in Loop: Header=BB4_497 Depth=2
	s_or_b32 exec_lo, exec_lo, s15
	s_and_saveexec_b32 s15, s13
; %bb.521:                              ;   in Loop: Header=BB4_497 Depth=2
	v_mul_u64_e32 v[12:13], v[10:11], v[34:35]
; %bb.522:                              ;   in Loop: Header=BB4_497 Depth=2
	s_or_b32 exec_lo, exec_lo, s15
	v_cmp_eq_u32_e32 vcc_lo, 0, v112
	v_and_b32_e32 v3, 0x2000, v30
	s_delay_alu instid0(VALU_DEP_3) | instskip(SKIP_2) | instid1(VALU_DEP_1)
	v_lshl_add_u64 v[10:11], v[12:13], 3, v[36:37]
	s_mov_b32 s13, exec_lo
	v_cndmask_b32_e32 v2, 0xd0, v120, vcc_lo
	v_add_nc_u32_e32 v2, v0, v2
	ds_store_b64 v2, v[10:11] offset:584
	v_cmpx_ne_u32_e32 0, v3
	s_cbranch_execz .LBB4_524
; %bb.523:                              ;   in Loop: Header=BB4_497 Depth=2
	ds_load_b64 v[10:11], v0 offset:872
	s_wait_dscnt 0x0
	v_add_nc_u64_e32 v[10:11], 1, v[10:11]
	ds_store_b64 v0, v[10:11] offset:872
.LBB4_524:                              ;   in Loop: Header=BB4_497 Depth=2
	s_or_b32 exec_lo, exec_lo, s13
	v_mov_b64_e32 v[114:115], v[8:9]
.LBB4_525:                              ;   in Loop: Header=BB4_497 Depth=2
	s_or_b32 exec_lo, exec_lo, s14
	s_and_saveexec_b32 s13, s2
	s_cbranch_execz .LBB4_544
; %bb.526:                              ;   in Loop: Header=BB4_497 Depth=2
	s_and_saveexec_b32 s14, s3
	s_delay_alu instid0(SALU_CYCLE_1)
	s_xor_b32 s14, exec_lo, s14
	s_cbranch_execz .LBB4_541
; %bb.527:                              ;   in Loop: Header=BB4_497 Depth=2
	s_and_saveexec_b32 s15, s6
	s_cbranch_execz .LBB4_540
; %bb.528:                              ;   in Loop: Header=BB4_497 Depth=2
	s_mov_b32 s17, exec_lo
	s_mov_b32 s16, exec_lo
	v_mbcnt_lo_u32_b32 v2, s17, 0
	global_wb scope:SCOPE_DEV
	s_wait_storecnt 0x0
	s_wait_loadcnt_dscnt 0x0
	global_inv scope:SCOPE_DEV
	v_cmpx_eq_u32_e32 0, v2
	s_cbranch_execz .LBB4_530
; %bb.529:                              ;   in Loop: Header=BB4_497 Depth=2
	s_bcnt1_i32_b32 s17, s17
	s_delay_alu instid0(SALU_CYCLE_1)
	v_mov_b32_e32 v112, s17
	s_wait_loadcnt 0x0
	ds_add_u64 v2, v[112:113]
	s_trap 2
.LBB4_530:                              ;   in Loop: Header=BB4_497 Depth=2
	s_or_b32 exec_lo, exec_lo, s16
	s_trap 2
	ds_load_b64 v[8:9], v2
	s_wait_dscnt 0x0
	v_add_nc_u64_e32 v[48:49], v[48:49], v[52:53]
	s_mov_b32 s16, exec_lo
	s_delay_alu instid0(VALU_DEP_1)
	v_cmpx_lt_u64_e64 v[8:9], v[48:49]
	s_cbranch_execz .LBB4_539
; %bb.531:                              ;   in Loop: Header=BB4_497 Depth=2
	s_mov_b32 s17, 0
	s_mov_b32 s45, 0
                                        ; implicit-def: $sgpr20
                                        ; implicit-def: $sgpr44
	s_branch .LBB4_533
.LBB4_532:                              ;   in Loop: Header=BB4_533 Depth=3
	s_or_b32 exec_lo, exec_lo, s76
	s_delay_alu instid0(SALU_CYCLE_1) | instskip(NEXT) | instid1(SALU_CYCLE_1)
	s_and_b32 s75, exec_lo, s77
	s_or_b32 s17, s75, s17
	s_and_not1_b32 s20, s20, exec_lo
	s_and_b32 s75, s44, exec_lo
	s_delay_alu instid0(SALU_CYCLE_1)
	s_or_b32 s20, s20, s75
	s_and_not1_b32 exec_lo, exec_lo, s17
	s_cbranch_execz .LBB4_537
.LBB4_533:                              ;   Parent Loop BB4_47 Depth=1
                                        ;     Parent Loop BB4_497 Depth=2
                                        ; =>    This Inner Loop Header: Depth=3
	s_add_co_i32 s45, s45, 1
	s_delay_alu instid0(SALU_CYCLE_1) | instskip(SKIP_1) | instid1(SALU_CYCLE_1)
	s_cmp_lg_u32 s45, 0x2710
	s_cselect_b32 s75, -1, 0
	s_and_b32 vcc_lo, exec_lo, s75
	s_cbranch_vccz .LBB4_535
; %bb.534:                              ;   in Loop: Header=BB4_533 Depth=3
	s_mov_b32 s77, -1
	s_or_b32 s44, s44, exec_lo
	s_and_saveexec_b32 s76, s75
	s_cbranch_execz .LBB4_532
	s_branch .LBB4_536
.LBB4_535:                              ;   in Loop: Header=BB4_533 Depth=3
	s_trap 2
	ds_load_b64 v[8:9], v2
	s_and_not1_b32 s75, s75, exec_lo
	s_mov_b32 s45, 0
	s_wait_loadcnt_dscnt 0x0
	flat_load_b32 v2, v[8:9] scope:SCOPE_SYS
	s_wait_loadcnt_dscnt 0x0
	global_inv scope:SCOPE_SYS
	v_cmp_eq_u32_e32 vcc_lo, 0, v2
	s_and_b32 s76, vcc_lo, exec_lo
	s_delay_alu instid0(SALU_CYCLE_1)
	s_or_b32 s75, s75, s76
	s_mov_b32 s77, -1
	s_or_b32 s44, s44, exec_lo
	s_and_saveexec_b32 s76, s75
	s_cbranch_execz .LBB4_532
.LBB4_536:                              ;   in Loop: Header=BB4_533 Depth=3
	s_sleep 1
	s_trap 2
	ds_load_b64 v[8:9], v2
	s_wait_dscnt 0x0
	s_and_not1_b32 s44, s44, exec_lo
	v_cmp_ge_u64_e32 vcc_lo, v[8:9], v[48:49]
	s_or_not1_b32 s77, vcc_lo, exec_lo
	s_branch .LBB4_532
.LBB4_537:                              ;   in Loop: Header=BB4_497 Depth=2
	s_or_b32 exec_lo, exec_lo, s17
	s_and_saveexec_b32 s17, s20
	s_delay_alu instid0(SALU_CYCLE_1)
	s_xor_b32 s17, exec_lo, s17
	s_cbranch_execz .LBB4_539
; %bb.538:                              ;   in Loop: Header=BB4_497 Depth=2
	ds_store_b32 v2, v111
	s_trap 2
.LBB4_539:                              ;   in Loop: Header=BB4_497 Depth=2
	s_or_b32 exec_lo, exec_lo, s16
	;;#ASMSTART
	s_wakeup
	;;#ASMEND
.LBB4_540:                              ;   in Loop: Header=BB4_497 Depth=2
	s_or_b32 exec_lo, exec_lo, s15
.LBB4_541:                              ;   in Loop: Header=BB4_497 Depth=2
	s_and_not1_saveexec_b32 s14, s14
	s_cbranch_execz .LBB4_543
; %bb.542:                              ;   in Loop: Header=BB4_497 Depth=2
	global_wb scope:SCOPE_DEV
	s_wait_storecnt 0x0
	s_wait_loadcnt_dscnt 0x0
	global_inv scope:SCOPE_DEV
	s_barrier_signal -1
	s_barrier_wait -1
.LBB4_543:                              ;   in Loop: Header=BB4_497 Depth=2
	s_or_b32 exec_lo, exec_lo, s14
.LBB4_544:                              ;   in Loop: Header=BB4_497 Depth=2
	s_delay_alu instid0(SALU_CYCLE_1) | instskip(SKIP_4) | instid1(VALU_DEP_1)
	s_or_b32 exec_lo, exec_lo, s13
	s_trap 2
	ds_load_b32 v8, v2
	v_and_b32_e32 v2, 0x4000, v30
	s_xor_b32 s13, s1, -1
	v_cmp_ne_u32_e32 vcc_lo, 0, v2
	s_and_b32 s14, s13, vcc_lo
	s_delay_alu instid0(SALU_CYCLE_1)
	s_and_saveexec_b32 s13, s14
	s_cbranch_execz .LBB4_563
; %bb.545:                              ;   in Loop: Header=BB4_497 Depth=2
	s_and_saveexec_b32 s14, s3
	s_delay_alu instid0(SALU_CYCLE_1)
	s_xor_b32 s14, exec_lo, s14
	s_cbranch_execz .LBB4_560
; %bb.546:                              ;   in Loop: Header=BB4_497 Depth=2
	s_and_saveexec_b32 s15, s6
	s_cbranch_execz .LBB4_559
; %bb.547:                              ;   in Loop: Header=BB4_497 Depth=2
	s_mov_b32 s17, exec_lo
	s_mov_b32 s16, exec_lo
	v_mbcnt_lo_u32_b32 v2, s17, 0
	global_wb scope:SCOPE_DEV
	s_wait_storecnt 0x0
	s_wait_loadcnt_dscnt 0x0
	global_inv scope:SCOPE_DEV
	v_cmpx_eq_u32_e32 0, v2
	s_cbranch_execz .LBB4_549
; %bb.548:                              ;   in Loop: Header=BB4_497 Depth=2
	s_bcnt1_i32_b32 s17, s17
	s_delay_alu instid0(SALU_CYCLE_1)
	v_mov_b32_e32 v112, s17
	s_wait_loadcnt 0x0
	ds_add_u64 v2, v[112:113]
	s_trap 2
.LBB4_549:                              ;   in Loop: Header=BB4_497 Depth=2
	s_or_b32 exec_lo, exec_lo, s16
	s_trap 2
	ds_load_b64 v[10:11], v2
	s_wait_dscnt 0x0
	v_add_nc_u64_e32 v[48:49], v[48:49], v[52:53]
	s_mov_b32 s16, exec_lo
	s_delay_alu instid0(VALU_DEP_1)
	v_cmpx_lt_u64_e64 v[10:11], v[48:49]
	s_cbranch_execz .LBB4_558
; %bb.550:                              ;   in Loop: Header=BB4_497 Depth=2
	s_mov_b32 s17, 0
	s_mov_b32 s45, 0
                                        ; implicit-def: $sgpr20
                                        ; implicit-def: $sgpr44
	s_branch .LBB4_552
.LBB4_551:                              ;   in Loop: Header=BB4_552 Depth=3
	s_or_b32 exec_lo, exec_lo, s76
	s_delay_alu instid0(SALU_CYCLE_1) | instskip(NEXT) | instid1(SALU_CYCLE_1)
	s_and_b32 s75, exec_lo, s77
	s_or_b32 s17, s75, s17
	s_and_not1_b32 s20, s20, exec_lo
	s_and_b32 s75, s44, exec_lo
	s_delay_alu instid0(SALU_CYCLE_1)
	s_or_b32 s20, s20, s75
	s_and_not1_b32 exec_lo, exec_lo, s17
	s_cbranch_execz .LBB4_556
.LBB4_552:                              ;   Parent Loop BB4_47 Depth=1
                                        ;     Parent Loop BB4_497 Depth=2
                                        ; =>    This Inner Loop Header: Depth=3
	s_add_co_i32 s45, s45, 1
	s_delay_alu instid0(SALU_CYCLE_1) | instskip(SKIP_1) | instid1(SALU_CYCLE_1)
	s_cmp_lg_u32 s45, 0x2710
	s_cselect_b32 s75, -1, 0
	s_and_b32 vcc_lo, exec_lo, s75
	s_cbranch_vccz .LBB4_554
; %bb.553:                              ;   in Loop: Header=BB4_552 Depth=3
	s_mov_b32 s77, -1
	s_or_b32 s44, s44, exec_lo
	s_and_saveexec_b32 s76, s75
	s_cbranch_execz .LBB4_551
	s_branch .LBB4_555
.LBB4_554:                              ;   in Loop: Header=BB4_552 Depth=3
	s_trap 2
	ds_load_b64 v[10:11], v2
	s_and_not1_b32 s75, s75, exec_lo
	s_mov_b32 s45, 0
	s_wait_loadcnt_dscnt 0x0
	flat_load_b32 v2, v[10:11] scope:SCOPE_SYS
	s_wait_loadcnt_dscnt 0x0
	global_inv scope:SCOPE_SYS
	v_cmp_eq_u32_e32 vcc_lo, 0, v2
	s_and_b32 s76, vcc_lo, exec_lo
	s_delay_alu instid0(SALU_CYCLE_1)
	s_or_b32 s75, s75, s76
	s_mov_b32 s77, -1
	s_or_b32 s44, s44, exec_lo
	s_and_saveexec_b32 s76, s75
	s_cbranch_execz .LBB4_551
.LBB4_555:                              ;   in Loop: Header=BB4_552 Depth=3
	s_sleep 1
	s_trap 2
	ds_load_b64 v[10:11], v2
	s_wait_dscnt 0x0
	s_and_not1_b32 s44, s44, exec_lo
	v_cmp_ge_u64_e32 vcc_lo, v[10:11], v[48:49]
	s_or_not1_b32 s77, vcc_lo, exec_lo
	s_branch .LBB4_551
.LBB4_556:                              ;   in Loop: Header=BB4_497 Depth=2
	s_or_b32 exec_lo, exec_lo, s17
	s_and_saveexec_b32 s17, s20
	s_delay_alu instid0(SALU_CYCLE_1)
	s_xor_b32 s17, exec_lo, s17
	s_cbranch_execz .LBB4_558
; %bb.557:                              ;   in Loop: Header=BB4_497 Depth=2
	ds_store_b32 v2, v111
	s_trap 2
.LBB4_558:                              ;   in Loop: Header=BB4_497 Depth=2
	s_or_b32 exec_lo, exec_lo, s16
	;;#ASMSTART
	s_wakeup
	;;#ASMEND
.LBB4_559:                              ;   in Loop: Header=BB4_497 Depth=2
	s_or_b32 exec_lo, exec_lo, s15
.LBB4_560:                              ;   in Loop: Header=BB4_497 Depth=2
	s_and_not1_saveexec_b32 s14, s14
	s_cbranch_execz .LBB4_562
; %bb.561:                              ;   in Loop: Header=BB4_497 Depth=2
	global_wb scope:SCOPE_DEV
	s_wait_storecnt 0x0
	s_wait_loadcnt_dscnt 0x0
	global_inv scope:SCOPE_DEV
	s_barrier_signal -1
	s_barrier_wait -1
.LBB4_562:                              ;   in Loop: Header=BB4_497 Depth=2
	s_or_b32 exec_lo, exec_lo, s14
.LBB4_563:                              ;   in Loop: Header=BB4_497 Depth=2
	s_delay_alu instid0(SALU_CYCLE_1)
	s_or_b32 exec_lo, exec_lo, s13
	s_trap 2
	ds_load_b64 v[46:47], v2
	s_wait_dscnt 0x0
	v_cmp_eq_u64_e32 vcc_lo, 0, v[46:47]
	s_cbranch_vccnz .LBB4_575
; %bb.564:                              ;   in Loop: Header=BB4_497 Depth=2
	s_trap 2
	ds_load_b64 v[56:57], v2
	s_wait_dscnt 0x0
	v_cmp_eq_u64_e32 vcc_lo, 0, v[56:57]
	s_cbranch_vccnz .LBB4_575
; %bb.565:                              ;   in Loop: Header=BB4_497 Depth=2
	s_trap 2
	ds_load_b64 v[58:59], v2
	v_cmp_eq_u32_e32 vcc_lo, 0, v8
	s_mov_b32 s13, -1
	v_cndmask_b32_e32 v41, 0, v40, vcc_lo
	s_delay_alu instid0(VALU_DEP_1)
	v_lshlrev_b32_e32 v43, 3, v41
	s_wait_dscnt 0x0
	v_cmp_ne_u64_e32 vcc_lo, 0, v[58:59]
	s_cbranch_vccz .LBB4_625
; %bb.566:                              ;   in Loop: Header=BB4_497 Depth=2
	s_and_saveexec_b32 s14, s11
	s_cbranch_execz .LBB4_568
; %bb.567:                              ;   in Loop: Header=BB4_497 Depth=2
	ds_load_b32 v2, v0 offset:720
	s_wait_dscnt 0x0
	v_and_b32_e32 v2, 15, v2
	s_delay_alu instid0(VALU_DEP_1)
	v_cmp_eq_u32_e32 vcc_lo, 0, v2
	s_or_not1_b32 s13, vcc_lo, exec_lo
.LBB4_568:                              ;   in Loop: Header=BB4_497 Depth=2
	s_or_b32 exec_lo, exec_lo, s14
	s_and_saveexec_b32 s14, s11
	s_cbranch_execz .LBB4_570
; %bb.569:                              ;   in Loop: Header=BB4_497 Depth=2
	ds_load_b32 v2, v0 offset:784
	s_wait_dscnt 0x0
	v_and_b32_e32 v2, 15, v2
	s_delay_alu instid0(VALU_DEP_1) | instskip(SKIP_3) | instid1(SALU_CYCLE_1)
	v_cmp_eq_u32_e32 vcc_lo, 0, v2
	s_and_b32 s15, s13, vcc_lo
	s_and_not1_b32 s13, s13, exec_lo
	s_and_b32 s15, s15, exec_lo
	s_or_b32 s13, s13, s15
.LBB4_570:                              ;   in Loop: Header=BB4_497 Depth=2
	s_or_b32 exec_lo, exec_lo, s14
	s_xor_b32 s13, s13, -1
	s_delay_alu instid0(SALU_CYCLE_1) | instskip(SKIP_1) | instid1(VALU_DEP_1)
	v_cndmask_b32_e64 v2, 0, 1, s13
	s_mov_b32 s13, -1
	v_cmp_ne_u32_e32 vcc_lo, 0, v2
	s_cbranch_vccz .LBB4_580
; %bb.571:                              ;   in Loop: Header=BB4_497 Depth=2
	v_alignbit_b32 v2, v58, v58, 1
	s_mov_b32 s44, -1
	s_delay_alu instid0(VALU_DEP_1) | instskip(SKIP_2) | instid1(SALU_CYCLE_1)
	v_readfirstlane_b32 s13, v2
	v_readfirstlane_b32 s75, v2
	s_and_b32 s20, s13, 0x7fffffff
	s_mov_b64 s[16:17], s[20:21]
	v_mov_b32_e32 v20, 0
	s_cbranch_execnz .LBB4_581
.LBB4_572:                              ;   in Loop: Header=BB4_497 Depth=2
	v_alignbit_b32 v2, v58, v58, 1
	v_mov_b64_e32 v[60:61], -1
	s_delay_alu instid0(VALU_DEP_2) | instskip(SKIP_2) | instid1(SALU_CYCLE_1)
	v_readfirstlane_b32 s13, v2
	v_readfirstlane_b32 s75, v2
	s_and_b32 s20, s13, 0x7fffffff
	s_cmp_lt_i32 s20, 1
	s_cbranch_scc1 .LBB4_584
; %bb.573:                              ;   in Loop: Header=BB4_497 Depth=2
	s_cmp_lg_u32 s20, 1
	s_cbranch_scc1 .LBB4_582
; %bb.574:                              ;   in Loop: Header=BB4_497 Depth=2
	s_mov_b64 s[16:17], 0x8000000000000000
	s_mov_b64 s[14:15], 1
	s_branch .LBB4_583
.LBB4_575:                              ;   in Loop: Header=BB4_497 Depth=2
	s_mov_b32 s13, 0
	s_and_saveexec_b32 s14, s2
	s_cbranch_execnz .LBB4_677
.LBB4_576:                              ;   in Loop: Header=BB4_497 Depth=2
	s_or_b32 exec_lo, exec_lo, s14
                                        ; implicit-def: $vgpr2
	s_and_saveexec_b32 s14, s12
	s_delay_alu instid0(SALU_CYCLE_1)
	s_xor_b32 s14, exec_lo, s14
	s_cbranch_execz .LBB4_695
.LBB4_577:                              ;   in Loop: Header=BB4_497 Depth=2
	v_and_b32_e32 v2, 16, v30
	s_delay_alu instid0(VALU_DEP_1) | instskip(SKIP_2) | instid1(SALU_CYCLE_1)
	v_cmp_ne_u32_e32 vcc_lo, 0, v2
	v_and_b32_e32 v2, 16, v30
	s_and_b32 s15, vcc_lo, s13
	s_and_saveexec_b32 s13, s15
	s_cbranch_execz .LBB4_579
; %bb.578:                              ;   in Loop: Header=BB4_497 Depth=2
	v_mov_b32_e32 v2, 1
	global_wb scope:SCOPE_SYS
	s_wait_storecnt 0x0
	s_wait_loadcnt_dscnt 0x0
	global_inv scope:SCOPE_SYS
.LBB4_579:                              ;   in Loop: Header=BB4_497 Depth=2
	s_or_b32 exec_lo, exec_lo, s13
	s_and_not1_saveexec_b32 s13, s14
	s_cbranch_execz .LBB4_714
	s_branch .LBB4_696
.LBB4_580:                              ;   in Loop: Header=BB4_497 Depth=2
	s_mov_b32 s44, 0
                                        ; implicit-def: $sgpr75
                                        ; implicit-def: $sgpr16_sgpr17
	v_mov_b32_e32 v20, 0
	s_and_not1_b32 vcc_lo, exec_lo, s13
	s_cbranch_vccz .LBB4_572
.LBB4_581:                              ;   in Loop: Header=BB4_497 Depth=2
	v_dual_mov_b32 v21, v43 :: v_dual_mov_b32 v2, v0
	v_mov_b32_e32 v22, v109
	s_and_saveexec_b32 s76, s44
	s_cbranch_execnz .LBB4_604
	s_branch .LBB4_624
.LBB4_582:                              ;   in Loop: Header=BB4_497 Depth=2
	s_mov_b64 s[14:15], 3
	s_mov_b64 s[16:17], 0
.LBB4_583:                              ;   in Loop: Header=BB4_497 Depth=2
	v_cmp_lt_u64_e64 s13, s[14:15], s[20:21]
	s_or_b64 s[76:77], s[16:17], 2.0
	s_mov_b32 s15, s21
	s_and_b32 s13, s13, exec_lo
	s_cselect_b32 s13, 0, s20
	s_cselect_b32 s17, s17, s77
	;; [unrolled: 1-line block ×3, first 2 shown]
	s_sub_co_i32 s13, s14, s13
	s_or_b64 s[76:77], s[16:17], 0x2000000000000000
	s_lshl_b32 s13, s13, 1
	s_delay_alu instid0(SALU_CYCLE_1) | instskip(NEXT) | instid1(SALU_CYCLE_1)
	s_or_b32 s14, s13, 1
	v_cmp_lt_u64_e64 s13, s[14:15], s[20:21]
	s_and_b32 s13, s13, exec_lo
	s_cselect_b32 s17, s17, s77
	s_cselect_b32 s16, s16, s76
	s_sub_nc_u64 s[76:77], s[14:15], s[20:21]
	s_delay_alu instid0(SALU_CYCLE_1) | instskip(SKIP_1) | instid1(VALU_DEP_1)
	v_min_u64 v[8:9], s[14:15], s[76:77]
	s_or_b64 s[14:15], s[16:17], 0x1000000000000000
	v_lshlrev_b64_e32 v[8:9], 1, v[8:9]
	s_delay_alu instid0(VALU_DEP_1) | instskip(NEXT) | instid1(VALU_DEP_1)
	v_or_b32_e32 v8, 1, v8
	v_sub_nc_u64_e64 v[10:11], v[8:9], s[20:21]
	v_cmp_gt_u64_e32 vcc_lo, s[20:21], v[8:9]
	s_delay_alu instid0(VALU_DEP_2) | instskip(SKIP_3) | instid1(SALU_CYCLE_1)
	v_min_u64 v[8:9], v[8:9], v[10:11]
	s_and_b32 s13, vcc_lo, exec_lo
	s_cselect_b32 s15, s17, s15
	s_cselect_b32 s14, s16, s14
	s_or_b64 s[16:17], s[14:15], 0x800000000000000
	s_delay_alu instid0(VALU_DEP_1) | instskip(NEXT) | instid1(VALU_DEP_1)
	v_lshlrev_b64_e32 v[8:9], 1, v[8:9]
	v_or_b32_e32 v8, 1, v8
	s_delay_alu instid0(VALU_DEP_1) | instskip(SKIP_1) | instid1(VALU_DEP_2)
	v_sub_nc_u64_e64 v[10:11], v[8:9], s[20:21]
	v_cmp_gt_u64_e32 vcc_lo, s[20:21], v[8:9]
	v_min_u64 v[8:9], v[8:9], v[10:11]
	s_and_b32 s13, vcc_lo, exec_lo
	s_cselect_b32 s15, s15, s17
	s_cselect_b32 s14, s14, s16
	s_delay_alu instid0(SALU_CYCLE_1) | instskip(NEXT) | instid1(VALU_DEP_1)
	s_or_b64 s[16:17], s[14:15], 0x400000000000000
	v_lshlrev_b64_e32 v[8:9], 1, v[8:9]
	s_delay_alu instid0(VALU_DEP_1) | instskip(NEXT) | instid1(VALU_DEP_1)
	v_or_b32_e32 v8, 1, v8
	v_sub_nc_u64_e64 v[10:11], v[8:9], s[20:21]
	v_cmp_gt_u64_e32 vcc_lo, s[20:21], v[8:9]
	s_delay_alu instid0(VALU_DEP_2) | instskip(SKIP_3) | instid1(SALU_CYCLE_1)
	v_min_u64 v[8:9], v[8:9], v[10:11]
	s_and_b32 s13, vcc_lo, exec_lo
	s_cselect_b32 s15, s15, s17
	s_cselect_b32 s14, s14, s16
	s_or_b64 s[16:17], s[14:15], 0x200000000000000
	s_delay_alu instid0(VALU_DEP_1) | instskip(NEXT) | instid1(VALU_DEP_1)
	v_lshlrev_b64_e32 v[8:9], 1, v[8:9]
	v_or_b32_e32 v8, 1, v8
	s_delay_alu instid0(VALU_DEP_1) | instskip(SKIP_1) | instid1(VALU_DEP_2)
	v_sub_nc_u64_e64 v[10:11], v[8:9], s[20:21]
	v_cmp_gt_u64_e32 vcc_lo, s[20:21], v[8:9]
	v_min_u64 v[8:9], v[8:9], v[10:11]
	s_and_b32 s13, vcc_lo, exec_lo
	s_cselect_b32 s15, s15, s17
	s_cselect_b32 s14, s14, s16
	s_delay_alu instid0(SALU_CYCLE_1) | instskip(NEXT) | instid1(VALU_DEP_1)
	s_or_b64 s[16:17], s[14:15], 0x100000000000000
	v_lshlrev_b64_e32 v[8:9], 1, v[8:9]
	s_delay_alu instid0(VALU_DEP_1) | instskip(NEXT) | instid1(VALU_DEP_1)
	v_or_b32_e32 v8, 1, v8
	v_sub_nc_u64_e64 v[10:11], v[8:9], s[20:21]
	v_cmp_gt_u64_e32 vcc_lo, s[20:21], v[8:9]
	s_delay_alu instid0(VALU_DEP_2) | instskip(SKIP_3) | instid1(SALU_CYCLE_1)
	v_min_u64 v[8:9], v[8:9], v[10:11]
	s_and_b32 s13, vcc_lo, exec_lo
	s_cselect_b32 s15, s15, s17
	s_cselect_b32 s14, s14, s16
	s_or_b64 s[16:17], s[14:15], 0x80000000000000
	s_delay_alu instid0(VALU_DEP_1) | instskip(NEXT) | instid1(VALU_DEP_1)
	v_lshlrev_b64_e32 v[8:9], 1, v[8:9]
	v_or_b32_e32 v8, 1, v8
	s_delay_alu instid0(VALU_DEP_1) | instskip(SKIP_1) | instid1(VALU_DEP_2)
	v_sub_nc_u64_e64 v[10:11], v[8:9], s[20:21]
	v_cmp_gt_u64_e32 vcc_lo, s[20:21], v[8:9]
	v_min_u64 v[8:9], v[8:9], v[10:11]
	s_and_b32 s13, vcc_lo, exec_lo
	s_cselect_b32 s15, s15, s17
	s_cselect_b32 s14, s14, s16
	s_delay_alu instid0(SALU_CYCLE_1) | instskip(NEXT) | instid1(VALU_DEP_1)
	s_or_b64 s[16:17], s[14:15], 0x40000000000000
	v_lshlrev_b64_e32 v[8:9], 1, v[8:9]
	s_delay_alu instid0(VALU_DEP_1) | instskip(NEXT) | instid1(VALU_DEP_1)
	v_or_b32_e32 v8, 1, v8
	v_sub_nc_u64_e64 v[10:11], v[8:9], s[20:21]
	v_cmp_gt_u64_e32 vcc_lo, s[20:21], v[8:9]
	s_delay_alu instid0(VALU_DEP_2) | instskip(SKIP_3) | instid1(SALU_CYCLE_1)
	v_min_u64 v[8:9], v[8:9], v[10:11]
	s_and_b32 s13, vcc_lo, exec_lo
	s_cselect_b32 s15, s15, s17
	s_cselect_b32 s14, s14, s16
	s_or_b64 s[16:17], s[14:15], 0x20000000000000
	s_delay_alu instid0(VALU_DEP_1) | instskip(NEXT) | instid1(VALU_DEP_1)
	v_lshlrev_b64_e32 v[8:9], 1, v[8:9]
	v_or_b32_e32 v8, 1, v8
	s_delay_alu instid0(VALU_DEP_1) | instskip(SKIP_1) | instid1(VALU_DEP_2)
	v_sub_nc_u64_e64 v[10:11], v[8:9], s[20:21]
	v_cmp_gt_u64_e32 vcc_lo, s[20:21], v[8:9]
	v_min_u64 v[8:9], v[8:9], v[10:11]
	s_and_b32 s13, vcc_lo, exec_lo
	s_cselect_b32 s15, s15, s17
	s_cselect_b32 s14, s14, s16
	s_delay_alu instid0(SALU_CYCLE_1) | instskip(NEXT) | instid1(VALU_DEP_1)
	s_or_b64 s[16:17], s[14:15], 0x10000000000000
	v_lshlrev_b64_e32 v[8:9], 1, v[8:9]
	s_delay_alu instid0(VALU_DEP_1) | instskip(NEXT) | instid1(VALU_DEP_1)
	v_or_b32_e32 v8, 1, v8
	v_sub_nc_u64_e64 v[10:11], v[8:9], s[20:21]
	v_cmp_gt_u64_e32 vcc_lo, s[20:21], v[8:9]
	s_delay_alu instid0(VALU_DEP_2) | instskip(SKIP_3) | instid1(SALU_CYCLE_1)
	v_min_u64 v[8:9], v[8:9], v[10:11]
	s_and_b32 s13, vcc_lo, exec_lo
	s_cselect_b32 s15, s15, s17
	s_cselect_b32 s14, s14, s16
	s_or_b64 s[16:17], s[14:15], 0x8000000000000
	s_delay_alu instid0(VALU_DEP_1) | instskip(NEXT) | instid1(VALU_DEP_1)
	v_lshlrev_b64_e32 v[8:9], 1, v[8:9]
	v_or_b32_e32 v8, 1, v8
	s_delay_alu instid0(VALU_DEP_1) | instskip(SKIP_1) | instid1(VALU_DEP_2)
	v_sub_nc_u64_e64 v[10:11], v[8:9], s[20:21]
	v_cmp_gt_u64_e32 vcc_lo, s[20:21], v[8:9]
	v_min_u64 v[8:9], v[8:9], v[10:11]
	s_and_b32 s13, vcc_lo, exec_lo
	s_cselect_b32 s15, s15, s17
	s_cselect_b32 s14, s14, s16
	s_delay_alu instid0(SALU_CYCLE_1) | instskip(NEXT) | instid1(VALU_DEP_1)
	s_or_b64 s[16:17], s[14:15], 0x4000000000000
	v_lshlrev_b64_e32 v[8:9], 1, v[8:9]
	s_delay_alu instid0(VALU_DEP_1) | instskip(NEXT) | instid1(VALU_DEP_1)
	v_or_b32_e32 v8, 1, v8
	v_sub_nc_u64_e64 v[10:11], v[8:9], s[20:21]
	v_cmp_gt_u64_e32 vcc_lo, s[20:21], v[8:9]
	s_delay_alu instid0(VALU_DEP_2) | instskip(SKIP_3) | instid1(SALU_CYCLE_1)
	v_min_u64 v[8:9], v[8:9], v[10:11]
	s_and_b32 s13, vcc_lo, exec_lo
	s_cselect_b32 s15, s15, s17
	s_cselect_b32 s14, s14, s16
	s_or_b64 s[16:17], s[14:15], 0x2000000000000
	s_delay_alu instid0(VALU_DEP_1) | instskip(NEXT) | instid1(VALU_DEP_1)
	v_lshlrev_b64_e32 v[8:9], 1, v[8:9]
	v_or_b32_e32 v8, 1, v8
	s_delay_alu instid0(VALU_DEP_1) | instskip(SKIP_1) | instid1(VALU_DEP_2)
	v_sub_nc_u64_e64 v[10:11], v[8:9], s[20:21]
	v_cmp_gt_u64_e32 vcc_lo, s[20:21], v[8:9]
	v_min_u64 v[8:9], v[8:9], v[10:11]
	s_and_b32 s13, vcc_lo, exec_lo
	s_cselect_b32 s15, s15, s17
	s_cselect_b32 s14, s14, s16
	s_delay_alu instid0(SALU_CYCLE_1) | instskip(NEXT) | instid1(VALU_DEP_1)
	s_or_b64 s[16:17], s[14:15], 0x1000000000000
	v_lshlrev_b64_e32 v[8:9], 1, v[8:9]
	s_delay_alu instid0(VALU_DEP_1) | instskip(NEXT) | instid1(VALU_DEP_1)
	v_or_b32_e32 v8, 1, v8
	v_sub_nc_u64_e64 v[10:11], v[8:9], s[20:21]
	v_cmp_gt_u64_e32 vcc_lo, s[20:21], v[8:9]
	s_delay_alu instid0(VALU_DEP_2) | instskip(SKIP_3) | instid1(SALU_CYCLE_1)
	v_min_u64 v[8:9], v[8:9], v[10:11]
	s_and_b32 s13, vcc_lo, exec_lo
	s_cselect_b32 s15, s15, s17
	s_cselect_b32 s14, s14, s16
	s_or_b64 s[16:17], s[14:15], 0x800000000000
	s_delay_alu instid0(VALU_DEP_1) | instskip(NEXT) | instid1(VALU_DEP_1)
	v_lshlrev_b64_e32 v[8:9], 1, v[8:9]
	v_or_b32_e32 v8, 1, v8
	s_delay_alu instid0(VALU_DEP_1) | instskip(SKIP_1) | instid1(VALU_DEP_2)
	v_sub_nc_u64_e64 v[10:11], v[8:9], s[20:21]
	v_cmp_gt_u64_e32 vcc_lo, s[20:21], v[8:9]
	v_min_u64 v[8:9], v[8:9], v[10:11]
	s_and_b32 s13, vcc_lo, exec_lo
	s_cselect_b32 s15, s15, s17
	s_cselect_b32 s14, s14, s16
	s_delay_alu instid0(SALU_CYCLE_1) | instskip(NEXT) | instid1(VALU_DEP_1)
	s_or_b64 s[16:17], s[14:15], 0x400000000000
	v_lshlrev_b64_e32 v[8:9], 1, v[8:9]
	s_delay_alu instid0(VALU_DEP_1) | instskip(NEXT) | instid1(VALU_DEP_1)
	v_or_b32_e32 v8, 1, v8
	v_sub_nc_u64_e64 v[10:11], v[8:9], s[20:21]
	v_cmp_gt_u64_e32 vcc_lo, s[20:21], v[8:9]
	s_delay_alu instid0(VALU_DEP_2) | instskip(SKIP_3) | instid1(SALU_CYCLE_1)
	v_min_u64 v[8:9], v[8:9], v[10:11]
	s_and_b32 s13, vcc_lo, exec_lo
	s_cselect_b32 s15, s15, s17
	s_cselect_b32 s14, s14, s16
	s_or_b64 s[16:17], s[14:15], 0x200000000000
	s_delay_alu instid0(VALU_DEP_1) | instskip(NEXT) | instid1(VALU_DEP_1)
	v_lshlrev_b64_e32 v[8:9], 1, v[8:9]
	v_or_b32_e32 v8, 1, v8
	s_delay_alu instid0(VALU_DEP_1) | instskip(SKIP_1) | instid1(VALU_DEP_2)
	v_sub_nc_u64_e64 v[10:11], v[8:9], s[20:21]
	v_cmp_gt_u64_e32 vcc_lo, s[20:21], v[8:9]
	v_min_u64 v[8:9], v[8:9], v[10:11]
	s_and_b32 s13, vcc_lo, exec_lo
	s_cselect_b32 s15, s15, s17
	s_cselect_b32 s14, s14, s16
	s_delay_alu instid0(SALU_CYCLE_1) | instskip(NEXT) | instid1(VALU_DEP_1)
	s_or_b64 s[16:17], s[14:15], 0x100000000000
	v_lshlrev_b64_e32 v[8:9], 1, v[8:9]
	s_delay_alu instid0(VALU_DEP_1) | instskip(NEXT) | instid1(VALU_DEP_1)
	v_or_b32_e32 v8, 1, v8
	v_sub_nc_u64_e64 v[10:11], v[8:9], s[20:21]
	v_cmp_gt_u64_e32 vcc_lo, s[20:21], v[8:9]
	s_delay_alu instid0(VALU_DEP_2) | instskip(SKIP_3) | instid1(SALU_CYCLE_1)
	v_min_u64 v[8:9], v[8:9], v[10:11]
	s_and_b32 s13, vcc_lo, exec_lo
	s_cselect_b32 s15, s15, s17
	s_cselect_b32 s14, s14, s16
	s_or_b64 s[16:17], s[14:15], 0x80000000000
	s_delay_alu instid0(VALU_DEP_1) | instskip(NEXT) | instid1(VALU_DEP_1)
	v_lshlrev_b64_e32 v[8:9], 1, v[8:9]
	v_or_b32_e32 v8, 1, v8
	s_delay_alu instid0(VALU_DEP_1) | instskip(SKIP_1) | instid1(VALU_DEP_2)
	v_sub_nc_u64_e64 v[10:11], v[8:9], s[20:21]
	v_cmp_gt_u64_e32 vcc_lo, s[20:21], v[8:9]
	v_min_u64 v[8:9], v[8:9], v[10:11]
	s_and_b32 s13, vcc_lo, exec_lo
	s_cselect_b32 s15, s15, s17
	s_cselect_b32 s14, s14, s16
	s_delay_alu instid0(SALU_CYCLE_1) | instskip(NEXT) | instid1(VALU_DEP_1)
	s_or_b64 s[16:17], s[14:15], 0x40000000000
	v_lshlrev_b64_e32 v[8:9], 1, v[8:9]
	s_delay_alu instid0(VALU_DEP_1) | instskip(NEXT) | instid1(VALU_DEP_1)
	v_or_b32_e32 v8, 1, v8
	v_sub_nc_u64_e64 v[10:11], v[8:9], s[20:21]
	v_cmp_gt_u64_e32 vcc_lo, s[20:21], v[8:9]
	s_delay_alu instid0(VALU_DEP_2) | instskip(SKIP_3) | instid1(SALU_CYCLE_1)
	v_min_u64 v[8:9], v[8:9], v[10:11]
	s_and_b32 s13, vcc_lo, exec_lo
	s_cselect_b32 s15, s15, s17
	s_cselect_b32 s14, s14, s16
	s_or_b64 s[16:17], s[14:15], 0x20000000000
	s_delay_alu instid0(VALU_DEP_1) | instskip(NEXT) | instid1(VALU_DEP_1)
	v_lshlrev_b64_e32 v[8:9], 1, v[8:9]
	v_or_b32_e32 v8, 1, v8
	s_delay_alu instid0(VALU_DEP_1) | instskip(SKIP_1) | instid1(VALU_DEP_2)
	v_sub_nc_u64_e64 v[10:11], v[8:9], s[20:21]
	v_cmp_gt_u64_e32 vcc_lo, s[20:21], v[8:9]
	v_min_u64 v[8:9], v[8:9], v[10:11]
	s_and_b32 s13, vcc_lo, exec_lo
	s_cselect_b32 s15, s15, s17
	s_cselect_b32 s14, s14, s16
	s_delay_alu instid0(SALU_CYCLE_1) | instskip(NEXT) | instid1(VALU_DEP_1)
	s_or_b64 s[16:17], s[14:15], 0x10000000000
	v_lshlrev_b64_e32 v[8:9], 1, v[8:9]
	s_delay_alu instid0(VALU_DEP_1) | instskip(NEXT) | instid1(VALU_DEP_1)
	v_or_b32_e32 v8, 1, v8
	v_sub_nc_u64_e64 v[10:11], v[8:9], s[20:21]
	v_cmp_gt_u64_e32 vcc_lo, s[20:21], v[8:9]
	s_delay_alu instid0(VALU_DEP_2) | instskip(SKIP_3) | instid1(SALU_CYCLE_1)
	v_min_u64 v[8:9], v[8:9], v[10:11]
	s_and_b32 s13, vcc_lo, exec_lo
	s_cselect_b32 s15, s15, s17
	s_cselect_b32 s14, s14, s16
	s_or_b64 s[16:17], s[14:15], 0x8000000000
	s_delay_alu instid0(VALU_DEP_1) | instskip(NEXT) | instid1(VALU_DEP_1)
	v_lshlrev_b64_e32 v[8:9], 1, v[8:9]
	v_or_b32_e32 v8, 1, v8
	s_delay_alu instid0(VALU_DEP_1) | instskip(SKIP_1) | instid1(VALU_DEP_2)
	v_sub_nc_u64_e64 v[10:11], v[8:9], s[20:21]
	v_cmp_gt_u64_e32 vcc_lo, s[20:21], v[8:9]
	v_min_u64 v[8:9], v[8:9], v[10:11]
	s_and_b32 s13, vcc_lo, exec_lo
	s_cselect_b32 s15, s15, s17
	s_cselect_b32 s14, s14, s16
	s_delay_alu instid0(SALU_CYCLE_1) | instskip(NEXT) | instid1(VALU_DEP_1)
	s_or_b64 s[16:17], s[14:15], 0x4000000000
	v_lshlrev_b64_e32 v[8:9], 1, v[8:9]
	s_delay_alu instid0(VALU_DEP_1) | instskip(NEXT) | instid1(VALU_DEP_1)
	v_or_b32_e32 v8, 1, v8
	v_sub_nc_u64_e64 v[10:11], v[8:9], s[20:21]
	v_cmp_gt_u64_e32 vcc_lo, s[20:21], v[8:9]
	s_delay_alu instid0(VALU_DEP_2) | instskip(SKIP_3) | instid1(SALU_CYCLE_1)
	v_min_u64 v[8:9], v[8:9], v[10:11]
	s_and_b32 s13, vcc_lo, exec_lo
	s_cselect_b32 s15, s15, s17
	s_cselect_b32 s14, s14, s16
	s_or_b64 s[16:17], s[14:15], 0x2000000000
	s_delay_alu instid0(VALU_DEP_1) | instskip(NEXT) | instid1(VALU_DEP_1)
	v_lshlrev_b64_e32 v[8:9], 1, v[8:9]
	v_or_b32_e32 v8, 1, v8
	s_delay_alu instid0(VALU_DEP_1) | instskip(SKIP_1) | instid1(VALU_DEP_2)
	v_sub_nc_u64_e64 v[10:11], v[8:9], s[20:21]
	v_cmp_gt_u64_e32 vcc_lo, s[20:21], v[8:9]
	v_min_u64 v[8:9], v[8:9], v[10:11]
	s_and_b32 s13, vcc_lo, exec_lo
	s_cselect_b32 s15, s15, s17
	s_cselect_b32 s14, s14, s16
	s_delay_alu instid0(SALU_CYCLE_1) | instskip(NEXT) | instid1(VALU_DEP_1)
	s_or_b64 s[16:17], s[14:15], 0x1000000000
	v_lshlrev_b64_e32 v[8:9], 1, v[8:9]
	s_delay_alu instid0(VALU_DEP_1) | instskip(NEXT) | instid1(VALU_DEP_1)
	v_or_b32_e32 v8, 1, v8
	v_sub_nc_u64_e64 v[10:11], v[8:9], s[20:21]
	v_cmp_gt_u64_e32 vcc_lo, s[20:21], v[8:9]
	s_delay_alu instid0(VALU_DEP_2) | instskip(SKIP_3) | instid1(SALU_CYCLE_1)
	v_min_u64 v[8:9], v[8:9], v[10:11]
	s_and_b32 s13, vcc_lo, exec_lo
	s_cselect_b32 s15, s15, s17
	s_cselect_b32 s14, s14, s16
	s_or_b64 s[16:17], s[14:15], 0x800000000
	s_delay_alu instid0(VALU_DEP_1) | instskip(NEXT) | instid1(VALU_DEP_1)
	v_lshlrev_b64_e32 v[8:9], 1, v[8:9]
	v_or_b32_e32 v8, 1, v8
	s_delay_alu instid0(VALU_DEP_1) | instskip(SKIP_1) | instid1(VALU_DEP_2)
	v_sub_nc_u64_e64 v[10:11], v[8:9], s[20:21]
	v_cmp_gt_u64_e32 vcc_lo, s[20:21], v[8:9]
	v_min_u64 v[8:9], v[8:9], v[10:11]
	s_and_b32 s13, vcc_lo, exec_lo
	s_cselect_b32 s15, s15, s17
	s_cselect_b32 s14, s14, s16
	s_delay_alu instid0(SALU_CYCLE_1) | instskip(NEXT) | instid1(VALU_DEP_1)
	s_or_b64 s[16:17], s[14:15], 0x400000000
	v_lshlrev_b64_e32 v[8:9], 1, v[8:9]
	s_delay_alu instid0(VALU_DEP_1) | instskip(NEXT) | instid1(VALU_DEP_1)
	v_or_b32_e32 v8, 1, v8
	v_sub_nc_u64_e64 v[10:11], v[8:9], s[20:21]
	v_cmp_gt_u64_e32 vcc_lo, s[20:21], v[8:9]
	s_delay_alu instid0(VALU_DEP_2) | instskip(SKIP_3) | instid1(SALU_CYCLE_1)
	v_min_u64 v[8:9], v[8:9], v[10:11]
	s_and_b32 s13, vcc_lo, exec_lo
	s_cselect_b32 s15, s15, s17
	s_cselect_b32 s14, s14, s16
	s_or_b64 s[16:17], s[14:15], 0x200000000
	s_delay_alu instid0(VALU_DEP_1) | instskip(NEXT) | instid1(VALU_DEP_1)
	v_lshlrev_b64_e32 v[8:9], 1, v[8:9]
	v_or_b32_e32 v8, 1, v8
	s_delay_alu instid0(VALU_DEP_1) | instskip(SKIP_1) | instid1(VALU_DEP_2)
	v_sub_nc_u64_e64 v[10:11], v[8:9], s[20:21]
	v_cmp_gt_u64_e32 vcc_lo, s[20:21], v[8:9]
	v_min_u64 v[8:9], v[8:9], v[10:11]
	s_and_b32 s13, vcc_lo, exec_lo
	s_cselect_b32 s15, s15, s17
	s_cselect_b32 s14, s14, s16
	s_delay_alu instid0(SALU_CYCLE_1) | instskip(NEXT) | instid1(VALU_DEP_1)
	s_or_b64 s[16:17], s[14:15], 0x100000000
	v_lshlrev_b64_e32 v[8:9], 1, v[8:9]
	s_delay_alu instid0(VALU_DEP_1) | instskip(NEXT) | instid1(VALU_DEP_1)
	v_or_b32_e32 v8, 1, v8
	v_sub_nc_u64_e64 v[10:11], v[8:9], s[20:21]
	v_cmp_gt_u64_e32 vcc_lo, s[20:21], v[8:9]
	s_delay_alu instid0(VALU_DEP_2) | instskip(SKIP_3) | instid1(SALU_CYCLE_1)
	v_min_u64 v[8:9], v[8:9], v[10:11]
	s_and_b32 s13, vcc_lo, exec_lo
	s_cselect_b32 s15, s15, s17
	s_cselect_b32 s14, s14, s16
	s_or_b64 s[16:17], s[14:15], s[24:25]
	s_delay_alu instid0(VALU_DEP_1) | instskip(NEXT) | instid1(VALU_DEP_1)
	v_lshlrev_b64_e32 v[8:9], 1, v[8:9]
	v_or_b32_e32 v8, 1, v8
	s_delay_alu instid0(VALU_DEP_1) | instskip(SKIP_1) | instid1(VALU_DEP_2)
	v_sub_nc_u64_e64 v[10:11], v[8:9], s[20:21]
	v_cmp_gt_u64_e32 vcc_lo, s[20:21], v[8:9]
	v_min_u64 v[8:9], v[8:9], v[10:11]
	s_and_b32 s13, vcc_lo, exec_lo
	s_cselect_b32 s15, s15, s17
	s_cselect_b32 s14, s14, s16
	s_delay_alu instid0(SALU_CYCLE_1) | instskip(NEXT) | instid1(VALU_DEP_1)
	s_or_b64 s[16:17], s[14:15], 0x40000000
	v_lshlrev_b64_e32 v[8:9], 1, v[8:9]
	s_delay_alu instid0(VALU_DEP_1) | instskip(NEXT) | instid1(VALU_DEP_1)
	v_or_b32_e32 v8, 1, v8
	v_sub_nc_u64_e64 v[10:11], v[8:9], s[20:21]
	v_cmp_gt_u64_e32 vcc_lo, s[20:21], v[8:9]
	s_delay_alu instid0(VALU_DEP_2) | instskip(SKIP_3) | instid1(SALU_CYCLE_1)
	v_min_u64 v[8:9], v[8:9], v[10:11]
	s_and_b32 s13, vcc_lo, exec_lo
	s_cselect_b32 s15, s15, s17
	s_cselect_b32 s14, s14, s16
	s_or_b64 s[16:17], s[14:15], 0x20000000
	s_delay_alu instid0(VALU_DEP_1) | instskip(NEXT) | instid1(VALU_DEP_1)
	v_lshlrev_b64_e32 v[8:9], 1, v[8:9]
	v_or_b32_e32 v8, 1, v8
	s_delay_alu instid0(VALU_DEP_1) | instskip(SKIP_1) | instid1(VALU_DEP_2)
	v_sub_nc_u64_e64 v[10:11], v[8:9], s[20:21]
	v_cmp_gt_u64_e32 vcc_lo, s[20:21], v[8:9]
	v_min_u64 v[8:9], v[8:9], v[10:11]
	s_and_b32 s13, vcc_lo, exec_lo
	s_cselect_b32 s15, s15, s17
	s_cselect_b32 s14, s14, s16
	s_delay_alu instid0(SALU_CYCLE_1) | instskip(NEXT) | instid1(VALU_DEP_1)
	s_or_b64 s[16:17], s[14:15], 0x10000000
	v_lshlrev_b64_e32 v[8:9], 1, v[8:9]
	s_delay_alu instid0(VALU_DEP_1) | instskip(NEXT) | instid1(VALU_DEP_1)
	v_or_b32_e32 v8, 1, v8
	v_sub_nc_u64_e64 v[10:11], v[8:9], s[20:21]
	v_cmp_gt_u64_e32 vcc_lo, s[20:21], v[8:9]
	s_delay_alu instid0(VALU_DEP_2) | instskip(SKIP_3) | instid1(SALU_CYCLE_1)
	v_min_u64 v[8:9], v[8:9], v[10:11]
	s_and_b32 s13, vcc_lo, exec_lo
	s_cselect_b32 s15, s15, s17
	s_cselect_b32 s14, s14, s16
	s_or_b64 s[16:17], s[14:15], 0x8000000
	s_delay_alu instid0(VALU_DEP_1) | instskip(NEXT) | instid1(VALU_DEP_1)
	v_lshlrev_b64_e32 v[8:9], 1, v[8:9]
	v_or_b32_e32 v8, 1, v8
	s_delay_alu instid0(VALU_DEP_1) | instskip(SKIP_1) | instid1(VALU_DEP_2)
	v_sub_nc_u64_e64 v[10:11], v[8:9], s[20:21]
	v_cmp_gt_u64_e32 vcc_lo, s[20:21], v[8:9]
	v_min_u64 v[8:9], v[8:9], v[10:11]
	s_and_b32 s13, vcc_lo, exec_lo
	s_cselect_b32 s15, s15, s17
	s_cselect_b32 s14, s14, s16
	s_delay_alu instid0(SALU_CYCLE_1) | instskip(NEXT) | instid1(VALU_DEP_1)
	s_or_b64 s[16:17], s[14:15], 0x4000000
	v_lshlrev_b64_e32 v[8:9], 1, v[8:9]
	s_delay_alu instid0(VALU_DEP_1) | instskip(NEXT) | instid1(VALU_DEP_1)
	v_or_b32_e32 v8, 1, v8
	v_sub_nc_u64_e64 v[10:11], v[8:9], s[20:21]
	v_cmp_gt_u64_e32 vcc_lo, s[20:21], v[8:9]
	s_delay_alu instid0(VALU_DEP_2) | instskip(SKIP_3) | instid1(SALU_CYCLE_1)
	v_min_u64 v[8:9], v[8:9], v[10:11]
	s_and_b32 s13, vcc_lo, exec_lo
	s_cselect_b32 s15, s15, s17
	s_cselect_b32 s14, s14, s16
	s_or_b64 s[16:17], s[14:15], 0x2000000
	s_delay_alu instid0(VALU_DEP_1) | instskip(NEXT) | instid1(VALU_DEP_1)
	v_lshlrev_b64_e32 v[8:9], 1, v[8:9]
	v_or_b32_e32 v8, 1, v8
	s_delay_alu instid0(VALU_DEP_1) | instskip(SKIP_1) | instid1(VALU_DEP_2)
	v_sub_nc_u64_e64 v[10:11], v[8:9], s[20:21]
	v_cmp_gt_u64_e32 vcc_lo, s[20:21], v[8:9]
	v_min_u64 v[8:9], v[8:9], v[10:11]
	s_and_b32 s13, vcc_lo, exec_lo
	s_cselect_b32 s15, s15, s17
	s_cselect_b32 s14, s14, s16
	s_delay_alu instid0(SALU_CYCLE_1) | instskip(NEXT) | instid1(VALU_DEP_1)
	s_or_b64 s[16:17], s[14:15], 0x1000000
	v_lshlrev_b64_e32 v[8:9], 1, v[8:9]
	s_delay_alu instid0(VALU_DEP_1) | instskip(NEXT) | instid1(VALU_DEP_1)
	v_or_b32_e32 v8, 1, v8
	v_sub_nc_u64_e64 v[10:11], v[8:9], s[20:21]
	v_cmp_gt_u64_e32 vcc_lo, s[20:21], v[8:9]
	s_delay_alu instid0(VALU_DEP_2) | instskip(SKIP_3) | instid1(SALU_CYCLE_1)
	v_min_u64 v[8:9], v[8:9], v[10:11]
	s_and_b32 s13, vcc_lo, exec_lo
	s_cselect_b32 s15, s15, s17
	s_cselect_b32 s14, s14, s16
	s_or_b64 s[16:17], s[14:15], 0x800000
	s_delay_alu instid0(VALU_DEP_1) | instskip(NEXT) | instid1(VALU_DEP_1)
	v_lshlrev_b64_e32 v[8:9], 1, v[8:9]
	v_or_b32_e32 v8, 1, v8
	s_delay_alu instid0(VALU_DEP_1) | instskip(SKIP_1) | instid1(VALU_DEP_2)
	v_sub_nc_u64_e64 v[10:11], v[8:9], s[20:21]
	v_cmp_gt_u64_e32 vcc_lo, s[20:21], v[8:9]
	v_min_u64 v[8:9], v[8:9], v[10:11]
	s_and_b32 s13, vcc_lo, exec_lo
	s_cselect_b32 s15, s15, s17
	s_cselect_b32 s14, s14, s16
	s_delay_alu instid0(SALU_CYCLE_1) | instskip(NEXT) | instid1(VALU_DEP_1)
	s_or_b64 s[16:17], s[14:15], 0x400000
	v_lshlrev_b64_e32 v[8:9], 1, v[8:9]
	s_delay_alu instid0(VALU_DEP_1) | instskip(NEXT) | instid1(VALU_DEP_1)
	v_or_b32_e32 v8, 1, v8
	v_sub_nc_u64_e64 v[10:11], v[8:9], s[20:21]
	v_cmp_gt_u64_e32 vcc_lo, s[20:21], v[8:9]
	s_delay_alu instid0(VALU_DEP_2) | instskip(SKIP_3) | instid1(SALU_CYCLE_1)
	v_min_u64 v[8:9], v[8:9], v[10:11]
	s_and_b32 s13, vcc_lo, exec_lo
	s_cselect_b32 s15, s15, s17
	s_cselect_b32 s14, s14, s16
	s_or_b64 s[16:17], s[14:15], 0x200000
	s_delay_alu instid0(VALU_DEP_1) | instskip(NEXT) | instid1(VALU_DEP_1)
	v_lshlrev_b64_e32 v[8:9], 1, v[8:9]
	v_or_b32_e32 v8, 1, v8
	s_delay_alu instid0(VALU_DEP_1) | instskip(SKIP_1) | instid1(VALU_DEP_2)
	v_sub_nc_u64_e64 v[10:11], v[8:9], s[20:21]
	v_cmp_gt_u64_e32 vcc_lo, s[20:21], v[8:9]
	v_min_u64 v[8:9], v[8:9], v[10:11]
	s_and_b32 s13, vcc_lo, exec_lo
	s_cselect_b32 s15, s15, s17
	s_cselect_b32 s14, s14, s16
	s_delay_alu instid0(SALU_CYCLE_1) | instskip(NEXT) | instid1(VALU_DEP_1)
	s_or_b64 s[16:17], s[14:15], 0x100000
	v_lshlrev_b64_e32 v[8:9], 1, v[8:9]
	s_delay_alu instid0(VALU_DEP_1) | instskip(NEXT) | instid1(VALU_DEP_1)
	v_or_b32_e32 v8, 1, v8
	v_sub_nc_u64_e64 v[10:11], v[8:9], s[20:21]
	v_cmp_gt_u64_e32 vcc_lo, s[20:21], v[8:9]
	s_delay_alu instid0(VALU_DEP_2) | instskip(SKIP_3) | instid1(SALU_CYCLE_1)
	v_min_u64 v[8:9], v[8:9], v[10:11]
	s_and_b32 s13, vcc_lo, exec_lo
	s_cselect_b32 s15, s15, s17
	s_cselect_b32 s14, s14, s16
	s_or_b64 s[16:17], s[14:15], 0x80000
	s_delay_alu instid0(VALU_DEP_1) | instskip(NEXT) | instid1(VALU_DEP_1)
	v_lshlrev_b64_e32 v[8:9], 1, v[8:9]
	v_or_b32_e32 v8, 1, v8
	s_delay_alu instid0(VALU_DEP_1) | instskip(SKIP_1) | instid1(VALU_DEP_2)
	v_sub_nc_u64_e64 v[10:11], v[8:9], s[20:21]
	v_cmp_gt_u64_e32 vcc_lo, s[20:21], v[8:9]
	v_min_u64 v[8:9], v[8:9], v[10:11]
	s_and_b32 s13, vcc_lo, exec_lo
	s_cselect_b32 s15, s15, s17
	s_cselect_b32 s14, s14, s16
	s_delay_alu instid0(SALU_CYCLE_1) | instskip(NEXT) | instid1(VALU_DEP_1)
	s_or_b64 s[16:17], s[14:15], 0x40000
	v_lshlrev_b64_e32 v[8:9], 1, v[8:9]
	s_delay_alu instid0(VALU_DEP_1) | instskip(NEXT) | instid1(VALU_DEP_1)
	v_or_b32_e32 v8, 1, v8
	v_sub_nc_u64_e64 v[10:11], v[8:9], s[20:21]
	v_cmp_gt_u64_e32 vcc_lo, s[20:21], v[8:9]
	s_delay_alu instid0(VALU_DEP_2) | instskip(SKIP_3) | instid1(SALU_CYCLE_1)
	v_min_u64 v[8:9], v[8:9], v[10:11]
	s_and_b32 s13, vcc_lo, exec_lo
	s_cselect_b32 s15, s15, s17
	s_cselect_b32 s14, s14, s16
	s_or_b64 s[16:17], s[14:15], 0x20000
	s_delay_alu instid0(VALU_DEP_1) | instskip(NEXT) | instid1(VALU_DEP_1)
	v_lshlrev_b64_e32 v[8:9], 1, v[8:9]
	v_or_b32_e32 v8, 1, v8
	s_delay_alu instid0(VALU_DEP_1) | instskip(SKIP_1) | instid1(VALU_DEP_2)
	v_sub_nc_u64_e64 v[10:11], v[8:9], s[20:21]
	v_cmp_gt_u64_e32 vcc_lo, s[20:21], v[8:9]
	v_min_u64 v[8:9], v[8:9], v[10:11]
	s_and_b32 s13, vcc_lo, exec_lo
	s_cselect_b32 s15, s15, s17
	s_cselect_b32 s14, s14, s16
	s_delay_alu instid0(SALU_CYCLE_1) | instskip(NEXT) | instid1(VALU_DEP_1)
	s_or_b64 s[16:17], s[14:15], 0x10000
	v_lshlrev_b64_e32 v[8:9], 1, v[8:9]
	s_delay_alu instid0(VALU_DEP_1) | instskip(NEXT) | instid1(VALU_DEP_1)
	v_or_b32_e32 v8, 1, v8
	v_sub_nc_u64_e64 v[10:11], v[8:9], s[20:21]
	v_cmp_gt_u64_e32 vcc_lo, s[20:21], v[8:9]
	s_delay_alu instid0(VALU_DEP_2) | instskip(SKIP_3) | instid1(SALU_CYCLE_1)
	v_min_u64 v[8:9], v[8:9], v[10:11]
	s_and_b32 s13, vcc_lo, exec_lo
	s_cselect_b32 s15, s15, s17
	s_cselect_b32 s14, s14, s16
	s_or_b64 s[16:17], s[14:15], 0x8000
	s_delay_alu instid0(VALU_DEP_1) | instskip(NEXT) | instid1(VALU_DEP_1)
	v_lshlrev_b64_e32 v[8:9], 1, v[8:9]
	v_or_b32_e32 v8, 1, v8
	s_delay_alu instid0(VALU_DEP_1) | instskip(SKIP_1) | instid1(VALU_DEP_2)
	v_sub_nc_u64_e64 v[10:11], v[8:9], s[20:21]
	v_cmp_gt_u64_e32 vcc_lo, s[20:21], v[8:9]
	v_min_u64 v[8:9], v[8:9], v[10:11]
	s_and_b32 s13, vcc_lo, exec_lo
	s_cselect_b32 s15, s15, s17
	s_cselect_b32 s14, s14, s16
	s_delay_alu instid0(SALU_CYCLE_1) | instskip(NEXT) | instid1(VALU_DEP_1)
	s_or_b64 s[16:17], s[14:15], 0x4000
	v_lshlrev_b64_e32 v[8:9], 1, v[8:9]
	s_delay_alu instid0(VALU_DEP_1) | instskip(NEXT) | instid1(VALU_DEP_1)
	v_or_b32_e32 v8, 1, v8
	v_sub_nc_u64_e64 v[10:11], v[8:9], s[20:21]
	v_cmp_gt_u64_e32 vcc_lo, s[20:21], v[8:9]
	s_delay_alu instid0(VALU_DEP_2) | instskip(SKIP_3) | instid1(SALU_CYCLE_1)
	v_min_u64 v[8:9], v[8:9], v[10:11]
	s_and_b32 s13, vcc_lo, exec_lo
	s_cselect_b32 s15, s15, s17
	s_cselect_b32 s14, s14, s16
	s_or_b64 s[16:17], s[14:15], 0x2000
	s_delay_alu instid0(VALU_DEP_1) | instskip(NEXT) | instid1(VALU_DEP_1)
	v_lshlrev_b64_e32 v[8:9], 1, v[8:9]
	v_or_b32_e32 v8, 1, v8
	s_delay_alu instid0(VALU_DEP_1) | instskip(SKIP_1) | instid1(VALU_DEP_2)
	v_sub_nc_u64_e64 v[10:11], v[8:9], s[20:21]
	v_cmp_gt_u64_e32 vcc_lo, s[20:21], v[8:9]
	v_min_u64 v[8:9], v[8:9], v[10:11]
	s_and_b32 s13, vcc_lo, exec_lo
	s_cselect_b32 s15, s15, s17
	s_cselect_b32 s14, s14, s16
	s_delay_alu instid0(SALU_CYCLE_1) | instskip(NEXT) | instid1(VALU_DEP_1)
	s_or_b64 s[16:17], s[14:15], 0x1000
	v_lshlrev_b64_e32 v[8:9], 1, v[8:9]
	s_delay_alu instid0(VALU_DEP_1) | instskip(NEXT) | instid1(VALU_DEP_1)
	v_or_b32_e32 v8, 1, v8
	v_sub_nc_u64_e64 v[10:11], v[8:9], s[20:21]
	v_cmp_gt_u64_e32 vcc_lo, s[20:21], v[8:9]
	s_delay_alu instid0(VALU_DEP_2) | instskip(SKIP_3) | instid1(SALU_CYCLE_1)
	v_min_u64 v[8:9], v[8:9], v[10:11]
	s_and_b32 s13, vcc_lo, exec_lo
	s_cselect_b32 s15, s15, s17
	s_cselect_b32 s14, s14, s16
	s_or_b64 s[16:17], s[14:15], 0x800
	s_delay_alu instid0(VALU_DEP_1) | instskip(NEXT) | instid1(VALU_DEP_1)
	v_lshlrev_b64_e32 v[8:9], 1, v[8:9]
	v_or_b32_e32 v8, 1, v8
	s_delay_alu instid0(VALU_DEP_1) | instskip(SKIP_1) | instid1(VALU_DEP_2)
	v_sub_nc_u64_e64 v[10:11], v[8:9], s[20:21]
	v_cmp_gt_u64_e32 vcc_lo, s[20:21], v[8:9]
	v_min_u64 v[8:9], v[8:9], v[10:11]
	s_and_b32 s13, vcc_lo, exec_lo
	s_cselect_b32 s15, s15, s17
	s_cselect_b32 s14, s14, s16
	s_delay_alu instid0(SALU_CYCLE_1) | instskip(NEXT) | instid1(VALU_DEP_1)
	s_or_b64 s[16:17], s[14:15], 0x400
	v_lshlrev_b64_e32 v[8:9], 1, v[8:9]
	s_delay_alu instid0(VALU_DEP_1) | instskip(NEXT) | instid1(VALU_DEP_1)
	v_or_b32_e32 v8, 1, v8
	v_sub_nc_u64_e64 v[10:11], v[8:9], s[20:21]
	v_cmp_gt_u64_e32 vcc_lo, s[20:21], v[8:9]
	s_delay_alu instid0(VALU_DEP_2) | instskip(SKIP_3) | instid1(SALU_CYCLE_1)
	v_min_u64 v[8:9], v[8:9], v[10:11]
	s_and_b32 s13, vcc_lo, exec_lo
	s_cselect_b32 s15, s15, s17
	s_cselect_b32 s14, s14, s16
	s_or_b64 s[16:17], s[14:15], 0x200
	s_delay_alu instid0(VALU_DEP_1) | instskip(NEXT) | instid1(VALU_DEP_1)
	v_lshlrev_b64_e32 v[8:9], 1, v[8:9]
	v_or_b32_e32 v8, 1, v8
	s_delay_alu instid0(VALU_DEP_1) | instskip(SKIP_1) | instid1(VALU_DEP_2)
	v_sub_nc_u64_e64 v[10:11], v[8:9], s[20:21]
	v_cmp_gt_u64_e32 vcc_lo, s[20:21], v[8:9]
	v_min_u64 v[8:9], v[8:9], v[10:11]
	s_and_b32 s13, vcc_lo, exec_lo
	s_cselect_b32 s15, s15, s17
	s_cselect_b32 s14, s14, s16
	s_delay_alu instid0(SALU_CYCLE_1) | instskip(NEXT) | instid1(VALU_DEP_1)
	s_or_b64 s[16:17], s[14:15], 0x100
	v_lshlrev_b64_e32 v[8:9], 1, v[8:9]
	s_delay_alu instid0(VALU_DEP_1) | instskip(NEXT) | instid1(VALU_DEP_1)
	v_or_b32_e32 v8, 1, v8
	v_sub_nc_u64_e64 v[10:11], v[8:9], s[20:21]
	v_cmp_gt_u64_e32 vcc_lo, s[20:21], v[8:9]
	s_delay_alu instid0(VALU_DEP_2) | instskip(SKIP_3) | instid1(SALU_CYCLE_1)
	v_min_u64 v[8:9], v[8:9], v[10:11]
	s_and_b32 s13, vcc_lo, exec_lo
	s_cselect_b32 s15, s15, s17
	s_cselect_b32 s14, s14, s16
	s_or_b64 s[16:17], s[14:15], 0x80
	s_delay_alu instid0(VALU_DEP_1) | instskip(NEXT) | instid1(VALU_DEP_1)
	v_lshlrev_b64_e32 v[8:9], 1, v[8:9]
	v_or_b32_e32 v8, 1, v8
	s_delay_alu instid0(VALU_DEP_1) | instskip(SKIP_1) | instid1(VALU_DEP_2)
	v_sub_nc_u64_e64 v[10:11], v[8:9], s[20:21]
	v_cmp_gt_u64_e32 vcc_lo, s[20:21], v[8:9]
	v_min_u64 v[8:9], v[8:9], v[10:11]
	s_and_b32 s13, vcc_lo, exec_lo
	s_cselect_b32 s15, s15, s17
	s_cselect_b32 s14, s14, s16
	s_delay_alu instid0(SALU_CYCLE_1) | instskip(NEXT) | instid1(VALU_DEP_1)
	s_or_b64 s[16:17], s[14:15], 64
	v_lshlrev_b64_e32 v[8:9], 1, v[8:9]
	s_delay_alu instid0(VALU_DEP_1) | instskip(NEXT) | instid1(VALU_DEP_1)
	v_or_b32_e32 v8, 1, v8
	v_sub_nc_u64_e64 v[10:11], v[8:9], s[20:21]
	v_cmp_gt_u64_e32 vcc_lo, s[20:21], v[8:9]
	s_delay_alu instid0(VALU_DEP_2) | instskip(SKIP_3) | instid1(SALU_CYCLE_1)
	v_min_u64 v[8:9], v[8:9], v[10:11]
	s_and_b32 s13, vcc_lo, exec_lo
	s_cselect_b32 s15, s15, s17
	s_cselect_b32 s14, s14, s16
	s_or_b64 s[16:17], s[14:15], 32
	s_delay_alu instid0(VALU_DEP_1) | instskip(NEXT) | instid1(VALU_DEP_1)
	v_lshlrev_b64_e32 v[8:9], 1, v[8:9]
	v_or_b32_e32 v8, 1, v8
	s_delay_alu instid0(VALU_DEP_1) | instskip(SKIP_1) | instid1(VALU_DEP_2)
	v_sub_nc_u64_e64 v[10:11], v[8:9], s[20:21]
	v_cmp_gt_u64_e32 vcc_lo, s[20:21], v[8:9]
	v_min_u64 v[8:9], v[8:9], v[10:11]
	s_and_b32 s13, vcc_lo, exec_lo
	s_cselect_b32 s15, s15, s17
	s_cselect_b32 s14, s14, s16
	s_delay_alu instid0(SALU_CYCLE_1) | instskip(NEXT) | instid1(VALU_DEP_1)
	s_or_b64 s[16:17], s[14:15], 16
	v_lshlrev_b64_e32 v[8:9], 1, v[8:9]
	s_delay_alu instid0(VALU_DEP_1) | instskip(NEXT) | instid1(VALU_DEP_1)
	v_or_b32_e32 v8, 1, v8
	v_sub_nc_u64_e64 v[10:11], v[8:9], s[20:21]
	v_cmp_gt_u64_e32 vcc_lo, s[20:21], v[8:9]
	s_delay_alu instid0(VALU_DEP_2) | instskip(SKIP_3) | instid1(SALU_CYCLE_1)
	v_min_u64 v[8:9], v[8:9], v[10:11]
	s_and_b32 s13, vcc_lo, exec_lo
	s_cselect_b32 s15, s15, s17
	s_cselect_b32 s14, s14, s16
	s_or_b64 s[16:17], s[14:15], 8
	s_delay_alu instid0(VALU_DEP_1) | instskip(NEXT) | instid1(VALU_DEP_1)
	v_lshlrev_b64_e32 v[8:9], 1, v[8:9]
	v_or_b32_e32 v8, 1, v8
	s_delay_alu instid0(VALU_DEP_1) | instskip(SKIP_1) | instid1(VALU_DEP_2)
	v_sub_nc_u64_e64 v[10:11], v[8:9], s[20:21]
	v_cmp_gt_u64_e32 vcc_lo, s[20:21], v[8:9]
	v_min_u64 v[8:9], v[8:9], v[10:11]
	s_and_b32 s13, vcc_lo, exec_lo
	s_cselect_b32 s15, s15, s17
	s_cselect_b32 s14, s14, s16
	s_delay_alu instid0(SALU_CYCLE_1) | instskip(NEXT) | instid1(VALU_DEP_1)
	s_or_b64 s[16:17], s[14:15], 4
	v_lshlrev_b64_e32 v[8:9], 1, v[8:9]
	s_delay_alu instid0(VALU_DEP_1) | instskip(NEXT) | instid1(VALU_DEP_1)
	v_or_b32_e32 v8, 1, v8
	v_sub_nc_u64_e64 v[10:11], v[8:9], s[20:21]
	v_cmp_gt_u64_e32 vcc_lo, s[20:21], v[8:9]
	s_delay_alu instid0(VALU_DEP_2) | instskip(SKIP_3) | instid1(SALU_CYCLE_1)
	v_min_u64 v[8:9], v[8:9], v[10:11]
	s_and_b32 s13, vcc_lo, exec_lo
	s_cselect_b32 s15, s15, s17
	s_cselect_b32 s14, s14, s16
	s_or_b64 s[16:17], s[14:15], 2
	s_delay_alu instid0(VALU_DEP_1) | instskip(NEXT) | instid1(VALU_DEP_1)
	v_lshlrev_b64_e32 v[8:9], 1, v[8:9]
	v_or_b32_e32 v8, 1, v8
	s_delay_alu instid0(VALU_DEP_1) | instskip(SKIP_1) | instid1(VALU_DEP_2)
	v_sub_nc_u64_e64 v[10:11], v[8:9], s[20:21]
	v_cmp_gt_u64_e32 vcc_lo, s[20:21], v[8:9]
	v_min_u64 v[8:9], v[8:9], v[10:11]
	s_and_b32 s13, vcc_lo, exec_lo
	s_cselect_b32 s13, s15, s17
	s_cselect_b32 s14, s14, s16
	v_mov_b32_e32 v61, s13
	s_delay_alu instid0(VALU_DEP_2) | instskip(NEXT) | instid1(VALU_DEP_1)
	v_lshlrev_b64_e32 v[8:9], 1, v[8:9]
	v_or_b32_e32 v8, 1, v8
	s_delay_alu instid0(VALU_DEP_1) | instskip(SKIP_1) | instid1(VALU_DEP_1)
	v_cmp_le_u64_e32 vcc_lo, s[20:21], v[8:9]
	v_cndmask_b32_e64 v2, 0, 1, vcc_lo
	v_or_b32_e32 v60, s14, v2
.LBB4_584:                              ;   in Loop: Header=BB4_497 Depth=2
	v_ashrrev_i32_e32 v2, 31, v43
	s_mov_b32 s45, exec_lo
	s_delay_alu instid0(VALU_DEP_1) | instskip(NEXT) | instid1(VALU_DEP_1)
	v_lshrrev_b32_e32 v2, 22, v2
	v_add_nc_u32_e32 v2, v43, v2
	s_delay_alu instid0(VALU_DEP_1) | instskip(NEXT) | instid1(VALU_DEP_1)
	v_ashrrev_i32_e32 v124, 10, v2
	v_sub_nc_u32_e32 v123, v124, v110
	s_delay_alu instid0(VALU_DEP_1)
	v_cmpx_lt_i32_e32 0, v123
	s_cbranch_execz .LBB4_588
; %bb.585:                              ;   in Loop: Header=BB4_497 Depth=2
	s_trap 2
	ds_load_b64 v[8:9], v2
	v_add_nc_u64_e32 v[62:63], v[46:47], v[82:83]
	v_add_nc_u64_e32 v[72:73], v[56:57], v[82:83]
	;; [unrolled: 1-line block ×3, first 2 shown]
	v_dual_mov_b32 v78, v60 :: v_dual_mov_b32 v79, v113
	s_cmp_lt_i32 s75, 0
	s_mov_b32 s76, 0
	s_cselect_b32 s77, -1, 0
	s_wait_dscnt 0x0
	v_add_nc_u64_e32 v[74:75], v[8:9], v[82:83]
.LBB4_586:                              ;   Parent Loop BB4_47 Depth=1
                                        ;     Parent Loop BB4_497 Depth=2
                                        ; =>    This Inner Loop Header: Depth=3
	global_load_b128 v[12:15], v[74:75], off th:TH_LOAD_NT
	s_clause 0x1
	global_load_b128 v[16:19], v[62:63], off th:TH_LOAD_NT
	global_load_b128 v[8:11], v[62:63], off offset:512 th:TH_LOAD_NT
	global_load_b128 v[20:23], v[74:75], off offset:512 th:TH_LOAD_NT
	v_dual_mov_b32 v91, v113 :: v_dual_mov_b32 v89, s21
	v_dual_mov_b32 v95, v113 :: v_dual_mov_b32 v93, s21
	;; [unrolled: 1-line block ×3, first 2 shown]
	v_dual_sub_nc_u32 v123, v123, v52 :: v_dual_mov_b32 v3, v113
	s_wait_xcnt 0x1
	v_add_nc_u64_e32 v[62:63], v[62:63], v[84:85]
	s_wait_xcnt 0x0
	v_add_nc_u64_e32 v[74:75], v[74:75], v[84:85]
	v_cmp_gt_i32_e32 vcc_lo, 1, v123
	s_wait_loadcnt 0x2
	v_add_nc_u64_e32 v[12:13], v[12:13], v[16:17]
	v_add_nc_u64_e32 v[14:15], v[14:15], v[18:19]
	s_wait_loadcnt 0x0
	v_add_nc_u64_e32 v[8:9], v[20:21], v[8:9]
	v_add_nc_u64_e32 v[10:11], v[22:23], v[10:11]
	s_delay_alu instid0(VALU_DEP_4)
	v_cmp_gt_i64_e64 s13, 0, v[12:13]
	v_sub_nc_u64_e32 v[16:17], 0, v[12:13]
	v_cmp_gt_i64_e64 s14, 0, v[14:15]
	v_sub_nc_u64_e32 v[18:19], 0, v[14:15]
	;; [unrolled: 2-line block ×3, first 2 shown]
	v_cmp_gt_i64_e64 s16, 0, v[10:11]
	s_and_b32 s13, s77, s13
	s_delay_alu instid0(SALU_CYCLE_1) | instskip(SKIP_1) | instid1(SALU_CYCLE_1)
	v_dual_mov_b32 v29, s21 :: v_dual_cndmask_b32 v13, v13, v17, s13
	s_and_b32 s14, s77, s14
	v_dual_cndmask_b32 v12, v12, v16, s13 :: v_dual_cndmask_b32 v15, v15, v19, s14
	s_and_b32 s15, s77, s15
	v_sub_nc_u64_e32 v[22:23], 0, v[10:11]
	s_delay_alu instid0(VALU_DEP_2) | instskip(SKIP_3) | instid1(VALU_DEP_2)
	v_dual_cndmask_b32 v19, v9, v21, s15 :: v_dual_mov_b32 v112, v12
	s_and_b32 s16, s77, s16
	v_dual_cndmask_b32 v14, v14, v18, s14 :: v_dual_cndmask_b32 v18, v8, v20, s15
	s_or_b32 s76, vcc_lo, s76
	v_mul_u64_e32 v[16:17], v[112:113], v[78:79]
	s_delay_alu instid0(VALU_DEP_4) | instskip(NEXT) | instid1(VALU_DEP_2)
	v_dual_cndmask_b32 v21, v11, v23, s16 :: v_dual_cndmask_b32 v20, v10, v22, s16
	v_mov_b32_e32 v112, v17
	s_delay_alu instid0(VALU_DEP_1) | instskip(NEXT) | instid1(VALU_DEP_1)
	v_mad_nc_u64_u32 v[8:9], v13, v60, v[112:113]
	v_dual_mov_b32 v112, v8 :: v_dual_mov_b32 v90, v9
	s_delay_alu instid0(VALU_DEP_1) | instskip(NEXT) | instid1(VALU_DEP_2)
	v_mad_nc_u64_u32 v[8:9], v12, v61, v[112:113]
	v_mad_nc_u64_u32 v[10:11], v13, v61, v[90:91]
	s_delay_alu instid0(VALU_DEP_2) | instskip(NEXT) | instid1(VALU_DEP_1)
	v_mov_b32_e32 v112, v9
	v_add_nc_u64_e32 v[8:9], v[10:11], v[112:113]
	v_mov_b32_e32 v112, v14
	s_delay_alu instid0(VALU_DEP_1) | instskip(NEXT) | instid1(VALU_DEP_3)
	v_mul_u64_e32 v[10:11], v[112:113], v[78:79]
	v_mul_u64_e32 v[16:17], s[20:21], v[8:9]
	s_delay_alu instid0(VALU_DEP_2) | instskip(NEXT) | instid1(VALU_DEP_2)
	v_mov_b32_e32 v112, v11
	v_sub_nc_u64_e32 v[10:11], v[12:13], v[16:17]
	s_delay_alu instid0(VALU_DEP_2) | instskip(NEXT) | instid1(VALU_DEP_2)
	v_mad_nc_u64_u32 v[12:13], v15, v60, v[112:113]
	v_cmp_le_u64_e64 s17, s[20:21], v[10:11]
	s_delay_alu instid0(VALU_DEP_1) | instskip(NEXT) | instid1(VALU_DEP_3)
	v_cndmask_b32_e64 v88, 0, 1, s17
	v_dual_mov_b32 v112, v12 :: v_dual_mov_b32 v94, v13
	s_delay_alu instid0(VALU_DEP_2) | instskip(NEXT) | instid1(VALU_DEP_2)
	v_add_nc_u64_e32 v[8:9], v[8:9], v[88:89]
	v_mad_nc_u64_u32 v[10:11], v14, v61, v[112:113]
	s_delay_alu instid0(VALU_DEP_3) | instskip(NEXT) | instid1(VALU_DEP_3)
	v_mad_nc_u64_u32 v[12:13], v15, v61, v[94:95]
	v_sub_nc_u64_e32 v[16:17], 0, v[8:9]
	s_delay_alu instid0(VALU_DEP_1) | instskip(NEXT) | instid1(VALU_DEP_2)
	v_dual_mov_b32 v112, v11 :: v_dual_cndmask_b32 v9, v9, v17, s13
	v_cndmask_b32_e64 v8, v8, v16, s13
	s_delay_alu instid0(VALU_DEP_2) | instskip(SKIP_1) | instid1(VALU_DEP_1)
	v_add_nc_u64_e32 v[10:11], v[12:13], v[112:113]
	v_mov_b32_e32 v112, v18
	v_mul_u64_e32 v[12:13], v[112:113], v[78:79]
	s_delay_alu instid0(VALU_DEP_3) | instskip(NEXT) | instid1(VALU_DEP_1)
	v_mul_u64_e32 v[22:23], s[20:21], v[10:11]
	v_sub_nc_u64_e32 v[14:15], v[14:15], v[22:23]
	s_delay_alu instid0(VALU_DEP_1) | instskip(NEXT) | instid1(VALU_DEP_1)
	v_cmp_le_u64_e64 s13, s[20:21], v[14:15]
	v_cndmask_b32_e64 v92, 0, 1, s13
	s_delay_alu instid0(VALU_DEP_1) | instskip(NEXT) | instid1(VALU_DEP_1)
	v_add_nc_u64_e32 v[10:11], v[10:11], v[92:93]
	v_sub_nc_u64_e32 v[22:23], 0, v[10:11]
	s_delay_alu instid0(VALU_DEP_1) | instskip(NEXT) | instid1(VALU_DEP_1)
	v_dual_mov_b32 v112, v13 :: v_dual_cndmask_b32 v10, v10, v22, s14
	v_mad_nc_u64_u32 v[12:13], v19, v60, v[112:113]
	s_delay_alu instid0(VALU_DEP_1) | instskip(NEXT) | instid1(VALU_DEP_2)
	v_dual_cndmask_b32 v11, v11, v23, s14 :: v_dual_mov_b32 v112, v12
	v_mov_b32_e32 v106, v13
	s_delay_alu instid0(VALU_DEP_2) | instskip(NEXT) | instid1(VALU_DEP_2)
	v_mad_nc_u64_u32 v[12:13], v18, v61, v[112:113]
	v_mad_nc_u64_u32 v[16:17], v19, v61, v[106:107]
	s_delay_alu instid0(VALU_DEP_2) | instskip(NEXT) | instid1(VALU_DEP_1)
	v_mov_b32_e32 v112, v13
	v_add_nc_u64_e32 v[12:13], v[16:17], v[112:113]
	v_mov_b32_e32 v112, v20
	s_delay_alu instid0(VALU_DEP_1) | instskip(NEXT) | instid1(VALU_DEP_1)
	v_mul_u64_e32 v[16:17], v[112:113], v[78:79]
	v_mov_b32_e32 v112, v17
	s_delay_alu instid0(VALU_DEP_4) | instskip(NEXT) | instid1(VALU_DEP_2)
	v_mul_u64_e32 v[16:17], s[20:21], v[12:13]
	v_mad_nc_u64_u32 v[14:15], v21, v60, v[112:113]
	s_delay_alu instid0(VALU_DEP_1) | instskip(NEXT) | instid1(VALU_DEP_1)
	v_dual_mov_b32 v112, v14 :: v_dual_mov_b32 v2, v15
	v_mad_nc_u64_u32 v[14:15], v20, v61, v[112:113]
	s_delay_alu instid0(VALU_DEP_2) | instskip(NEXT) | instid1(VALU_DEP_2)
	v_mad_nc_u64_u32 v[2:3], v21, v61, v[2:3]
	v_mov_b32_e32 v112, v15
	v_sub_nc_u64_e32 v[16:17], v[18:19], v[16:17]
	s_delay_alu instid0(VALU_DEP_2) | instskip(NEXT) | instid1(VALU_DEP_2)
	v_add_nc_u64_e32 v[2:3], v[2:3], v[112:113]
	v_cmp_le_u64_e64 s13, s[20:21], v[16:17]
	s_delay_alu instid0(VALU_DEP_2) | instskip(NEXT) | instid1(VALU_DEP_2)
	v_mul_u64_e32 v[14:15], s[20:21], v[2:3]
	v_cndmask_b32_e64 v104, 0, 1, s13
	s_delay_alu instid0(VALU_DEP_1) | instskip(NEXT) | instid1(VALU_DEP_1)
	v_add_nc_u64_e32 v[12:13], v[12:13], v[104:105]
	v_sub_nc_u64_e32 v[16:17], 0, v[12:13]
	s_delay_alu instid0(VALU_DEP_1) | instskip(SKIP_1) | instid1(VALU_DEP_1)
	v_dual_cndmask_b32 v13, v13, v17, s15 :: v_dual_cndmask_b32 v12, v12, v16, s15
	v_sub_nc_u64_e32 v[14:15], v[20:21], v[14:15]
	v_cmp_le_u64_e64 s13, s[20:21], v[14:15]
	s_delay_alu instid0(VALU_DEP_1) | instskip(NEXT) | instid1(VALU_DEP_1)
	v_cndmask_b32_e64 v28, 0, 1, s13
	v_add_nc_u64_e32 v[2:3], v[2:3], v[28:29]
	s_delay_alu instid0(VALU_DEP_1) | instskip(NEXT) | instid1(VALU_DEP_1)
	v_sub_nc_u64_e32 v[14:15], 0, v[2:3]
	v_dual_cndmask_b32 v15, v3, v15, s16 :: v_dual_cndmask_b32 v14, v2, v14, s16
	s_clause 0x1
	global_store_b128 v[72:73], v[8:11], off th:TH_STORE_NT
	global_store_b128 v[72:73], v[12:15], off offset:512 th:TH_STORE_NT
	s_clause 0x1
	global_store_b128 v[76:77], v[8:11], off th:TH_STORE_NT
	global_store_b128 v[76:77], v[12:15], off offset:512 th:TH_STORE_NT
	s_wait_xcnt 0x2
	v_add_nc_u64_e32 v[72:73], v[72:73], v[84:85]
	s_wait_xcnt 0x0
	v_add_nc_u64_e32 v[76:77], v[76:77], v[84:85]
	s_and_not1_b32 exec_lo, exec_lo, s76
	s_cbranch_execnz .LBB4_586
; %bb.587:                              ;   in Loop: Header=BB4_497 Depth=2
	s_or_b32 exec_lo, exec_lo, s76
.LBB4_588:                              ;   in Loop: Header=BB4_497 Depth=2
	s_delay_alu instid0(SALU_CYCLE_1) | instskip(SKIP_2) | instid1(VALU_DEP_1)
	s_or_b32 exec_lo, exec_lo, s45
	v_lshlrev_b32_e32 v60, 10, v124
	s_mov_b32 s45, exec_lo
                                        ; implicit-def: $vgpr21
                                        ; implicit-def: $vgpr20
                                        ; implicit-def: $vgpr2
                                        ; implicit-def: $vgpr22
	v_cmpx_ne_u32_e64 v43, v60
	s_cbranch_execz .LBB4_603
; %bb.589:                              ;   in Loop: Header=BB4_497 Depth=2
	v_mov_b64_e32 v[12:13], -1
	s_cmp_lt_i32 s20, 1
	s_cbranch_scc1 .LBB4_594
; %bb.590:                              ;   in Loop: Header=BB4_497 Depth=2
	s_cmp_lg_u32 s20, 1
	s_cbranch_scc1 .LBB4_592
; %bb.591:                              ;   in Loop: Header=BB4_497 Depth=2
	s_mov_b64 s[16:17], 0x8000000000000000
	s_mov_b64 s[14:15], 1
	s_branch .LBB4_593
.LBB4_592:                              ;   in Loop: Header=BB4_497 Depth=2
	s_mov_b64 s[14:15], 3
	s_mov_b64 s[16:17], 0
.LBB4_593:                              ;   in Loop: Header=BB4_497 Depth=2
	v_cmp_lt_u64_e64 s13, s[14:15], s[20:21]
	s_or_b64 s[76:77], s[16:17], 2.0
	s_mov_b32 s15, s21
	s_and_b32 s13, s13, exec_lo
	s_cselect_b32 s13, 0, s20
	s_cselect_b32 s17, s17, s77
	;; [unrolled: 1-line block ×3, first 2 shown]
	s_sub_co_i32 s13, s14, s13
	s_or_b64 s[76:77], s[16:17], 0x2000000000000000
	s_lshl_b32 s13, s13, 1
	s_delay_alu instid0(SALU_CYCLE_1) | instskip(NEXT) | instid1(SALU_CYCLE_1)
	s_or_b32 s14, s13, 1
	v_cmp_lt_u64_e64 s13, s[14:15], s[20:21]
	s_and_b32 s13, s13, exec_lo
	s_cselect_b32 s17, s17, s77
	s_cselect_b32 s16, s16, s76
	s_sub_nc_u64 s[76:77], s[14:15], s[20:21]
	s_delay_alu instid0(SALU_CYCLE_1) | instskip(SKIP_1) | instid1(VALU_DEP_1)
	v_min_u64 v[2:3], s[14:15], s[76:77]
	s_or_b64 s[14:15], s[16:17], 0x1000000000000000
	v_lshlrev_b64_e32 v[2:3], 1, v[2:3]
	s_delay_alu instid0(VALU_DEP_1) | instskip(NEXT) | instid1(VALU_DEP_1)
	v_or_b32_e32 v2, 1, v2
	v_sub_nc_u64_e64 v[8:9], v[2:3], s[20:21]
	v_cmp_gt_u64_e32 vcc_lo, s[20:21], v[2:3]
	s_delay_alu instid0(VALU_DEP_2) | instskip(SKIP_3) | instid1(SALU_CYCLE_1)
	v_min_u64 v[2:3], v[2:3], v[8:9]
	s_and_b32 s13, vcc_lo, exec_lo
	s_cselect_b32 s15, s17, s15
	s_cselect_b32 s14, s16, s14
	s_or_b64 s[16:17], s[14:15], 0x800000000000000
	s_delay_alu instid0(VALU_DEP_1) | instskip(NEXT) | instid1(VALU_DEP_1)
	v_lshlrev_b64_e32 v[2:3], 1, v[2:3]
	v_or_b32_e32 v2, 1, v2
	s_delay_alu instid0(VALU_DEP_1) | instskip(SKIP_1) | instid1(VALU_DEP_2)
	v_sub_nc_u64_e64 v[8:9], v[2:3], s[20:21]
	v_cmp_gt_u64_e32 vcc_lo, s[20:21], v[2:3]
	v_min_u64 v[2:3], v[2:3], v[8:9]
	s_and_b32 s13, vcc_lo, exec_lo
	s_cselect_b32 s15, s15, s17
	s_cselect_b32 s14, s14, s16
	s_delay_alu instid0(SALU_CYCLE_1) | instskip(NEXT) | instid1(VALU_DEP_1)
	s_or_b64 s[16:17], s[14:15], 0x400000000000000
	v_lshlrev_b64_e32 v[2:3], 1, v[2:3]
	s_delay_alu instid0(VALU_DEP_1) | instskip(NEXT) | instid1(VALU_DEP_1)
	v_or_b32_e32 v2, 1, v2
	v_sub_nc_u64_e64 v[8:9], v[2:3], s[20:21]
	v_cmp_gt_u64_e32 vcc_lo, s[20:21], v[2:3]
	s_delay_alu instid0(VALU_DEP_2) | instskip(SKIP_3) | instid1(SALU_CYCLE_1)
	v_min_u64 v[2:3], v[2:3], v[8:9]
	s_and_b32 s13, vcc_lo, exec_lo
	s_cselect_b32 s15, s15, s17
	s_cselect_b32 s14, s14, s16
	s_or_b64 s[16:17], s[14:15], 0x200000000000000
	s_delay_alu instid0(VALU_DEP_1) | instskip(NEXT) | instid1(VALU_DEP_1)
	v_lshlrev_b64_e32 v[2:3], 1, v[2:3]
	v_or_b32_e32 v2, 1, v2
	s_delay_alu instid0(VALU_DEP_1) | instskip(SKIP_1) | instid1(VALU_DEP_2)
	v_sub_nc_u64_e64 v[8:9], v[2:3], s[20:21]
	v_cmp_gt_u64_e32 vcc_lo, s[20:21], v[2:3]
	v_min_u64 v[2:3], v[2:3], v[8:9]
	s_and_b32 s13, vcc_lo, exec_lo
	s_cselect_b32 s15, s15, s17
	s_cselect_b32 s14, s14, s16
	s_delay_alu instid0(SALU_CYCLE_1) | instskip(NEXT) | instid1(VALU_DEP_1)
	;; [unrolled: 23-line block ×29, first 2 shown]
	s_or_b64 s[16:17], s[14:15], 4
	v_lshlrev_b64_e32 v[2:3], 1, v[2:3]
	s_delay_alu instid0(VALU_DEP_1) | instskip(NEXT) | instid1(VALU_DEP_1)
	v_or_b32_e32 v2, 1, v2
	v_sub_nc_u64_e64 v[8:9], v[2:3], s[20:21]
	v_cmp_gt_u64_e32 vcc_lo, s[20:21], v[2:3]
	s_delay_alu instid0(VALU_DEP_2) | instskip(SKIP_3) | instid1(SALU_CYCLE_1)
	v_min_u64 v[2:3], v[2:3], v[8:9]
	s_and_b32 s13, vcc_lo, exec_lo
	s_cselect_b32 s15, s15, s17
	s_cselect_b32 s14, s14, s16
	s_or_b64 s[16:17], s[14:15], 2
	s_delay_alu instid0(VALU_DEP_1) | instskip(NEXT) | instid1(VALU_DEP_1)
	v_lshlrev_b64_e32 v[2:3], 1, v[2:3]
	v_or_b32_e32 v2, 1, v2
	s_delay_alu instid0(VALU_DEP_1) | instskip(SKIP_1) | instid1(VALU_DEP_2)
	v_sub_nc_u64_e64 v[8:9], v[2:3], s[20:21]
	v_cmp_gt_u64_e32 vcc_lo, s[20:21], v[2:3]
	v_min_u64 v[2:3], v[2:3], v[8:9]
	s_and_b32 s13, vcc_lo, exec_lo
	s_cselect_b32 s13, s15, s17
	s_cselect_b32 s14, s14, s16
	v_mov_b32_e32 v13, s13
	s_delay_alu instid0(VALU_DEP_2) | instskip(NEXT) | instid1(VALU_DEP_1)
	v_lshlrev_b64_e32 v[2:3], 1, v[2:3]
	v_or_b32_e32 v2, 1, v2
	s_delay_alu instid0(VALU_DEP_1) | instskip(SKIP_1) | instid1(VALU_DEP_1)
	v_cmp_le_u64_e32 vcc_lo, s[20:21], v[2:3]
	v_cndmask_b32_e64 v2, 0, 1, vcc_lo
	v_or_b32_e32 v12, s14, v2
.LBB4_594:                              ;   in Loop: Header=BB4_497 Depth=2
	v_dual_lshlrev_b32 v2, 5, v123 :: v_dual_sub_nc_u32 v8, v43, v60
	s_mov_b32 s76, exec_lo
	s_delay_alu instid0(VALU_DEP_1) | instskip(NEXT) | instid1(VALU_DEP_1)
	v_dual_sub_nc_u32 v2, v109, v2 :: v_dual_ashrrev_i32 v9, 31, v8
	v_dual_ashrrev_i32 v3, 31, v2 :: v_dual_lshrrev_b32 v9, 23, v9
	s_delay_alu instid0(VALU_DEP_1) | instskip(NEXT) | instid1(VALU_DEP_1)
	v_lshrrev_b32_e32 v3, 27, v3
	v_add_nc_u32_e32 v3, v2, v3
	s_delay_alu instid0(VALU_DEP_1) | instskip(NEXT) | instid1(VALU_DEP_1)
	v_and_b32_e32 v10, 0xffffffe0, v3
	v_dual_add_nc_u32 v9, v8, v9 :: v_dual_sub_nc_u32 v62, v2, v10
	s_delay_alu instid0(VALU_DEP_1) | instskip(SKIP_1) | instid1(VALU_DEP_3)
	v_and_b32_e32 v61, 0xfffffe00, v9
	v_dual_ashrrev_i32 v3, 5, v3 :: v_dual_ashrrev_i32 v9, 9, v9
	v_lshlrev_b32_e32 v2, 4, v62
	s_delay_alu instid0(VALU_DEP_1) | instskip(NEXT) | instid1(VALU_DEP_1)
	v_lshl_add_u32 v2, v3, 9, v2
	v_dual_sub_nc_u32 v63, v8, v61 :: v_dual_sub_nc_u32 v73, v8, v2
	s_delay_alu instid0(VALU_DEP_1) | instskip(NEXT) | instid1(VALU_DEP_1)
	v_cmp_lt_i32_e64 s13, 15, v63
	v_add_co_ci_u32_e64 v9, null, 0, v9, s13
	s_delay_alu instid0(VALU_DEP_1) | instskip(NEXT) | instid1(VALU_DEP_4)
	v_sub_nc_u32_e32 v72, v9, v3
	v_cmpx_lt_i32_e32 15, v73
	s_cbranch_execz .LBB4_600
; %bb.595:                              ;   in Loop: Header=BB4_497 Depth=2
	s_trap 2
	ds_load_b64 v[8:9], v10
	v_dual_add_nc_u32 v2, v2, v60 :: v_dual_mov_b32 v22, v12
	s_cmp_lt_i32 s75, 0
	v_mov_b32_e32 v23, v113
	s_mov_b32 s77, 0
	s_delay_alu instid0(VALU_DEP_2) | instskip(SKIP_1) | instid1(VALU_DEP_1)
	v_ashrrev_i32_e32 v3, 31, v2
	s_cselect_b32 s78, -1, 0
	v_add_nc_u64_e32 v[14:15], v[2:3], v[46:47]
	v_add_nc_u64_e32 v[16:17], v[2:3], v[56:57]
	;; [unrolled: 1-line block ×3, first 2 shown]
	s_wait_dscnt 0x0
	v_add_nc_u64_e32 v[18:19], v[8:9], v[2:3]
.LBB4_596:                              ;   Parent Loop BB4_47 Depth=1
                                        ;     Parent Loop BB4_497 Depth=2
                                        ; =>    This Loop Header: Depth=3
                                        ;         Child Loop BB4_597 Depth 4
	global_load_b128 v[8:11], v[14:15], off th:TH_LOAD_NT
	global_load_b128 v[74:77], v[18:19], off th:TH_LOAD_NT
	s_mov_b64 s[16:17], 0
	s_mov_b32 s79, -1
	v_mov_b32_e32 v29, v113
	s_wait_loadcnt 0x0
	v_add_nc_u64_e32 v[2:3], v[74:75], v[8:9]
	v_add_nc_u64_e32 v[10:11], v[76:77], v[10:11]
	s_delay_alu instid0(VALU_DEP_2) | instskip(SKIP_1) | instid1(VALU_DEP_3)
	v_cmp_gt_i64_e32 vcc_lo, 0, v[2:3]
	v_sub_nc_u64_e32 v[8:9], 0, v[2:3]
	v_cmp_gt_i64_e64 s14, 0, v[10:11]
	v_sub_nc_u64_e32 v[74:75], 0, v[10:11]
	s_and_b32 vcc_lo, s78, vcc_lo
	v_dual_cndmask_b32 v3, v3, v9 :: v_dual_cndmask_b32 v2, v2, v8
	s_and_b32 s14, s78, s14
	s_delay_alu instid0(VALU_DEP_2) | instid1(SALU_CYCLE_1)
	v_dual_cndmask_b32 v11, v11, v75, s14 :: v_dual_cndmask_b32 v10, v10, v74, s14
	s_delay_alu instid0(VALU_DEP_2) | instskip(NEXT) | instid1(VALU_DEP_1)
	v_dual_mov_b32 v112, v2 :: v_dual_mov_b32 v75, v113
	v_mul_u64_e32 v[8:9], v[112:113], v[22:23]
	s_delay_alu instid0(VALU_DEP_1) | instskip(NEXT) | instid1(VALU_DEP_1)
	v_mov_b32_e32 v112, v9
	v_mad_nc_u64_u32 v[8:9], v3, v12, v[112:113]
	s_delay_alu instid0(VALU_DEP_1) | instskip(NEXT) | instid1(VALU_DEP_1)
	v_dual_mov_b32 v112, v8 :: v_dual_mov_b32 v28, v9
	v_mad_nc_u64_u32 v[8:9], v2, v13, v[112:113]
	s_delay_alu instid0(VALU_DEP_2) | instskip(NEXT) | instid1(VALU_DEP_2)
	v_mad_nc_u64_u32 v[28:29], v3, v13, v[28:29]
	v_mov_b32_e32 v112, v9
	s_delay_alu instid0(VALU_DEP_1) | instskip(SKIP_1) | instid1(VALU_DEP_1)
	v_add_nc_u64_e32 v[8:9], v[28:29], v[112:113]
	v_mov_b32_e32 v112, v10
	v_mul_u64_e32 v[28:29], v[112:113], v[22:23]
	s_delay_alu instid0(VALU_DEP_1) | instskip(NEXT) | instid1(VALU_DEP_1)
	v_mov_b32_e32 v112, v29
	v_mad_nc_u64_u32 v[28:29], v11, v12, v[112:113]
	s_delay_alu instid0(VALU_DEP_1) | instskip(NEXT) | instid1(VALU_DEP_1)
	v_dual_mov_b32 v112, v28 :: v_dual_mov_b32 v74, v29
	v_mad_nc_u64_u32 v[28:29], v10, v13, v[112:113]
	s_delay_alu instid0(VALU_DEP_2) | instskip(NEXT) | instid1(VALU_DEP_2)
	v_mad_nc_u64_u32 v[74:75], v11, v13, v[74:75]
	v_mov_b32_e32 v112, v29
	s_delay_alu instid0(VALU_DEP_1) | instskip(SKIP_1) | instid1(VALU_DEP_2)
	v_add_nc_u64_e32 v[28:29], v[74:75], v[112:113]
	v_mul_u64_e32 v[74:75], s[20:21], v[8:9]
	v_mul_u64_e32 v[76:77], s[20:21], v[28:29]
	s_delay_alu instid0(VALU_DEP_2) | instskip(SKIP_1) | instid1(VALU_DEP_3)
	v_sub_nc_u64_e32 v[2:3], v[2:3], v[74:75]
	v_mov_b32_e32 v75, s21
	v_sub_nc_u64_e32 v[10:11], v[10:11], v[76:77]
	s_delay_alu instid0(VALU_DEP_3) | instskip(SKIP_1) | instid1(VALU_DEP_2)
	v_cmp_le_u64_e64 s15, s[20:21], v[2:3]
	v_mov_b32_e32 v77, s21
	v_cndmask_b32_e64 v74, 0, 1, s15
	s_delay_alu instid0(VALU_DEP_4) | instskip(NEXT) | instid1(VALU_DEP_2)
	v_cmp_le_u64_e64 s15, s[20:21], v[10:11]
	v_add_nc_u64_e32 v[2:3], v[8:9], v[74:75]
	s_delay_alu instid0(VALU_DEP_2) | instskip(NEXT) | instid1(VALU_DEP_2)
	v_cndmask_b32_e64 v76, 0, 1, s15
	v_sub_nc_u64_e32 v[8:9], 0, v[2:3]
	s_delay_alu instid0(VALU_DEP_2) | instskip(NEXT) | instid1(VALU_DEP_2)
	v_add_nc_u64_e32 v[10:11], v[28:29], v[76:77]
	v_dual_cndmask_b32 v9, v3, v9 :: v_dual_cndmask_b32 v8, v2, v8
	s_delay_alu instid0(VALU_DEP_2) | instskip(NEXT) | instid1(VALU_DEP_1)
	v_sub_nc_u64_e32 v[28:29], 0, v[10:11]
	v_dual_cndmask_b32 v11, v11, v29, s14 :: v_dual_cndmask_b32 v10, v10, v28, s14
.LBB4_597:                              ;   Parent Loop BB4_47 Depth=1
                                        ;     Parent Loop BB4_497 Depth=2
                                        ;       Parent Loop BB4_596 Depth=3
                                        ; =>      This Inner Loop Header: Depth=4
	s_cmp_eq_u32 s16, 1
	s_cselect_b32 vcc_lo, -1, 0
	s_cmp_eq_u32 s16, 0
	s_wait_xcnt 0x0
	v_dual_cndmask_b32 v3, v17, v21 :: v_dual_cndmask_b32 v2, v16, v20
	s_cselect_b32 s14, -1, 0
	s_and_b32 s15, exec_lo, s79
	s_mov_b64 s[16:17], 1
	s_mov_b32 s79, 0
	v_add_nc_u64_e32 v[28:29], 0x200, v[2:3]
	global_store_b128 v[2:3], v[8:11], off th:TH_STORE_NT
	v_dual_cndmask_b32 v21, v21, v29 :: v_dual_cndmask_b32 v20, v20, v28
	v_dual_cndmask_b32 v17, v17, v29, s14 :: v_dual_cndmask_b32 v16, v16, v28, s14
	s_mov_b32 vcc_lo, s15
	s_cbranch_vccnz .LBB4_597
; %bb.598:                              ;   in Loop: Header=BB4_596 Depth=3
	v_dual_sub_nc_u32 v73, v73, v70 :: v_dual_sub_nc_u32 v72, v72, v52
	s_wait_xcnt 0x2
	v_add_nc_u64_e32 v[14:15], v[14:15], v[100:101]
	s_wait_xcnt 0x1
	v_add_nc_u64_e32 v[18:19], v[18:19], v[100:101]
	v_add_nc_u64_e32 v[16:17], v[16:17], v[96:97]
	v_cmp_gt_i32_e32 vcc_lo, 16, v73
	v_add_nc_u64_e32 v[20:21], v[20:21], v[96:97]
	s_or_b32 s77, vcc_lo, s77
	s_wait_xcnt 0x0
	s_and_not1_b32 exec_lo, exec_lo, s77
	s_cbranch_execnz .LBB4_596
; %bb.599:                              ;   in Loop: Header=BB4_497 Depth=2
	s_or_b32 exec_lo, exec_lo, s77
.LBB4_600:                              ;   in Loop: Header=BB4_497 Depth=2
	s_delay_alu instid0(SALU_CYCLE_1) | instskip(SKIP_3) | instid1(VALU_DEP_1)
	s_or_b32 exec_lo, exec_lo, s76
	v_and_b32_e32 v8, 8, v43
	s_mov_b32 s15, s44
	s_mov_b32 s14, exec_lo
                                        ; implicit-def: $vgpr20
                                        ; implicit-def: $vgpr2
                                        ; implicit-def: $vgpr22
	v_cndmask_b32_e64 v21, v63, v8, s13
	s_delay_alu instid0(VALU_DEP_1)
	v_cmpx_ne_u32_e32 0, v21
	s_cbranch_execz .LBB4_602
; %bb.601:                              ;   in Loop: Header=BB4_497 Depth=2
	v_cmp_lt_i32_e32 vcc_lo, 0, v72
	s_or_b32 s15, s44, exec_lo
	v_sub_nc_u32_e32 v8, v63, v8
	v_cndmask_b32_e32 v2, 0, v52, vcc_lo
	s_delay_alu instid0(VALU_DEP_2) | instskip(NEXT) | instid1(VALU_DEP_2)
	v_cndmask_b32_e64 v8, 0, v8, s13
	v_sub_nc_u32_e32 v2, v2, v72
	s_delay_alu instid0(VALU_DEP_2) | instskip(NEXT) | instid1(VALU_DEP_2)
	v_add3_u32 v20, v61, v60, v8
	v_lshl_add_u32 v2, v2, 5, v62
	s_delay_alu instid0(VALU_DEP_1) | instskip(NEXT) | instid1(VALU_DEP_1)
	v_ashrrev_i32_e32 v3, 31, v2
	v_lshrrev_b32_e32 v3, 27, v3
	s_delay_alu instid0(VALU_DEP_1) | instskip(NEXT) | instid1(VALU_DEP_1)
	v_add_nc_u32_e32 v3, v2, v3
	v_and_b32_e32 v3, 0xffffffe0, v3
	s_delay_alu instid0(VALU_DEP_1)
	v_sub_nc_u32_e32 v22, v2, v3
.LBB4_602:                              ;   in Loop: Header=BB4_497 Depth=2
	s_or_b32 exec_lo, exec_lo, s14
	s_delay_alu instid0(SALU_CYCLE_1) | instskip(SKIP_1) | instid1(SALU_CYCLE_1)
	s_and_not1_b32 s13, s44, exec_lo
	s_and_b32 s14, s15, exec_lo
	s_or_b32 s44, s13, s14
.LBB4_603:                              ;   in Loop: Header=BB4_497 Depth=2
	s_or_b32 exec_lo, exec_lo, s45
	s_mov_b64 s[16:17], s[20:21]
	s_and_saveexec_b32 s76, s44
	s_cbranch_execz .LBB4_624
.LBB4_604:                              ;   in Loop: Header=BB4_497 Depth=2
	v_mov_b64_e32 v[8:9], -1
	s_cmp_lt_i32 s20, 1
	s_cbranch_scc1 .LBB4_609
; %bb.605:                              ;   in Loop: Header=BB4_497 Depth=2
	s_cmp_lg_u32 s20, 1
	s_cbranch_scc1 .LBB4_607
; %bb.606:                              ;   in Loop: Header=BB4_497 Depth=2
	s_mov_b64 s[44:45], 0x8000000000000000
	s_mov_b64 s[14:15], 1
	s_branch .LBB4_608
.LBB4_607:                              ;   in Loop: Header=BB4_497 Depth=2
	s_mov_b64 s[14:15], 3
	s_mov_b64 s[44:45], 0
.LBB4_608:                              ;   in Loop: Header=BB4_497 Depth=2
	v_cmp_lt_u64_e64 s13, s[14:15], s[16:17]
	s_or_b64 s[78:79], s[44:45], 2.0
	s_mov_b32 s15, s21
	s_and_b32 s13, s13, exec_lo
	s_cselect_b32 s13, 0, s16
	s_cselect_b32 s45, s45, s79
	;; [unrolled: 1-line block ×3, first 2 shown]
	s_sub_co_i32 s13, s14, s13
	s_or_b64 s[78:79], s[44:45], 0x2000000000000000
	s_lshl_b32 s13, s13, 1
	s_delay_alu instid0(SALU_CYCLE_1) | instskip(NEXT) | instid1(SALU_CYCLE_1)
	s_or_b32 s14, s13, 1
	v_cmp_lt_u64_e64 s13, s[14:15], s[16:17]
	s_and_b32 s13, s13, exec_lo
	s_cselect_b32 s45, s45, s79
	s_cselect_b32 s44, s44, s78
	s_sub_nc_u64 s[78:79], s[14:15], s[16:17]
	s_delay_alu instid0(SALU_CYCLE_1) | instskip(SKIP_1) | instid1(VALU_DEP_1)
	v_min_u64 v[8:9], s[14:15], s[78:79]
	s_or_b64 s[14:15], s[44:45], 0x1000000000000000
	v_lshlrev_b64_e32 v[8:9], 1, v[8:9]
	s_delay_alu instid0(VALU_DEP_1) | instskip(NEXT) | instid1(VALU_DEP_1)
	v_or_b32_e32 v8, 1, v8
	v_sub_nc_u64_e64 v[10:11], v[8:9], s[16:17]
	v_cmp_gt_u64_e32 vcc_lo, s[16:17], v[8:9]
	s_delay_alu instid0(VALU_DEP_2) | instskip(SKIP_3) | instid1(SALU_CYCLE_1)
	v_min_u64 v[8:9], v[8:9], v[10:11]
	s_and_b32 s13, vcc_lo, exec_lo
	s_cselect_b32 s15, s45, s15
	s_cselect_b32 s14, s44, s14
	s_or_b64 s[44:45], s[14:15], 0x800000000000000
	s_delay_alu instid0(VALU_DEP_1) | instskip(NEXT) | instid1(VALU_DEP_1)
	v_lshlrev_b64_e32 v[8:9], 1, v[8:9]
	v_or_b32_e32 v8, 1, v8
	s_delay_alu instid0(VALU_DEP_1) | instskip(SKIP_1) | instid1(VALU_DEP_2)
	v_sub_nc_u64_e64 v[10:11], v[8:9], s[16:17]
	v_cmp_gt_u64_e32 vcc_lo, s[16:17], v[8:9]
	v_min_u64 v[8:9], v[8:9], v[10:11]
	s_and_b32 s13, vcc_lo, exec_lo
	s_cselect_b32 s15, s15, s45
	s_cselect_b32 s14, s14, s44
	s_delay_alu instid0(SALU_CYCLE_1) | instskip(NEXT) | instid1(VALU_DEP_1)
	s_or_b64 s[44:45], s[14:15], 0x400000000000000
	v_lshlrev_b64_e32 v[8:9], 1, v[8:9]
	s_delay_alu instid0(VALU_DEP_1) | instskip(NEXT) | instid1(VALU_DEP_1)
	v_or_b32_e32 v8, 1, v8
	v_sub_nc_u64_e64 v[10:11], v[8:9], s[16:17]
	v_cmp_gt_u64_e32 vcc_lo, s[16:17], v[8:9]
	s_delay_alu instid0(VALU_DEP_2) | instskip(SKIP_3) | instid1(SALU_CYCLE_1)
	v_min_u64 v[8:9], v[8:9], v[10:11]
	s_and_b32 s13, vcc_lo, exec_lo
	s_cselect_b32 s15, s15, s45
	s_cselect_b32 s14, s14, s44
	s_or_b64 s[44:45], s[14:15], 0x200000000000000
	s_delay_alu instid0(VALU_DEP_1) | instskip(NEXT) | instid1(VALU_DEP_1)
	v_lshlrev_b64_e32 v[8:9], 1, v[8:9]
	v_or_b32_e32 v8, 1, v8
	s_delay_alu instid0(VALU_DEP_1) | instskip(SKIP_1) | instid1(VALU_DEP_2)
	v_sub_nc_u64_e64 v[10:11], v[8:9], s[16:17]
	v_cmp_gt_u64_e32 vcc_lo, s[16:17], v[8:9]
	v_min_u64 v[8:9], v[8:9], v[10:11]
	s_and_b32 s13, vcc_lo, exec_lo
	s_cselect_b32 s15, s15, s45
	s_cselect_b32 s14, s14, s44
	s_delay_alu instid0(SALU_CYCLE_1) | instskip(NEXT) | instid1(VALU_DEP_1)
	;; [unrolled: 23-line block ×29, first 2 shown]
	s_or_b64 s[44:45], s[14:15], 4
	v_lshlrev_b64_e32 v[8:9], 1, v[8:9]
	s_delay_alu instid0(VALU_DEP_1) | instskip(NEXT) | instid1(VALU_DEP_1)
	v_or_b32_e32 v8, 1, v8
	v_sub_nc_u64_e64 v[10:11], v[8:9], s[16:17]
	v_cmp_gt_u64_e32 vcc_lo, s[16:17], v[8:9]
	s_delay_alu instid0(VALU_DEP_2) | instskip(SKIP_3) | instid1(SALU_CYCLE_1)
	v_min_u64 v[8:9], v[8:9], v[10:11]
	s_and_b32 s13, vcc_lo, exec_lo
	s_cselect_b32 s15, s15, s45
	s_cselect_b32 s14, s14, s44
	s_or_b64 s[44:45], s[14:15], 2
	s_delay_alu instid0(VALU_DEP_1) | instskip(NEXT) | instid1(VALU_DEP_1)
	v_lshlrev_b64_e32 v[8:9], 1, v[8:9]
	v_or_b32_e32 v8, 1, v8
	s_delay_alu instid0(VALU_DEP_1) | instskip(SKIP_1) | instid1(VALU_DEP_2)
	v_sub_nc_u64_e64 v[10:11], v[8:9], s[16:17]
	v_cmp_gt_u64_e32 vcc_lo, s[16:17], v[8:9]
	v_min_u64 v[8:9], v[8:9], v[10:11]
	s_and_b32 s13, vcc_lo, exec_lo
	s_cselect_b32 s13, s15, s45
	s_cselect_b32 s14, s14, s44
	s_delay_alu instid0(VALU_DEP_1) | instskip(NEXT) | instid1(VALU_DEP_1)
	v_lshlrev_b64_e32 v[8:9], 1, v[8:9]
	v_or_b32_e32 v8, 1, v8
	s_delay_alu instid0(VALU_DEP_1) | instskip(SKIP_2) | instid1(VALU_DEP_1)
	v_cmp_le_u64_e32 vcc_lo, s[16:17], v[8:9]
	v_mov_b32_e32 v9, s13
	v_cndmask_b32_e64 v8, 0, 1, vcc_lo
	v_or_b32_e32 v8, s14, v8
.LBB4_609:                              ;   in Loop: Header=BB4_497 Depth=2
	v_dual_ashrrev_i32 v3, 31, v2 :: v_dual_ashrrev_i32 v10, 31, v21
	s_mov_b32 s44, exec_lo
	s_delay_alu instid0(VALU_DEP_1) | instskip(NEXT) | instid1(VALU_DEP_1)
	v_dual_lshrrev_b32 v3, 27, v3 :: v_dual_lshrrev_b32 v10, 23, v10
	v_dual_add_nc_u32 v2, v2, v3 :: v_dual_add_nc_u32 v3, v21, v10
	s_delay_alu instid0(VALU_DEP_1) | instskip(NEXT) | instid1(VALU_DEP_1)
	v_dual_ashrrev_i32 v2, 5, v2 :: v_dual_ashrrev_i32 v60, 9, v3
	v_sub_nc_u32_e32 v23, v60, v2
	s_delay_alu instid0(VALU_DEP_1)
	v_cmpx_lt_i32_e32 0, v23
	s_cbranch_execz .LBB4_613
; %bb.610:                              ;   in Loop: Header=BB4_497 Depth=2
	s_trap 2
	ds_load_b64 v[14:15], v10
	v_dual_lshlrev_b32 v2, 9, v2 :: v_dual_mov_b32 v18, v8
	v_dual_lshlrev_b32 v3, 3, v22 :: v_dual_mov_b32 v19, v113
	s_cmp_lt_i32 s75, 0
	s_mov_b32 s45, 0
	s_cselect_b32 s77, -1, 0
	s_delay_alu instid0(VALU_DEP_1) | instskip(NEXT) | instid1(VALU_DEP_1)
	v_add3_u32 v2, v20, v3, v2
	v_ashrrev_i32_e32 v3, 31, v2
	s_delay_alu instid0(VALU_DEP_1)
	v_add_nc_u64_e32 v[10:11], v[2:3], v[46:47]
	v_add_nc_u64_e32 v[12:13], v[2:3], v[56:57]
	s_wait_dscnt 0x0
	v_add_nc_u64_e32 v[14:15], v[14:15], v[2:3]
	v_add_nc_u64_e32 v[16:17], v[2:3], v[58:59]
.LBB4_611:                              ;   Parent Loop BB4_47 Depth=1
                                        ;     Parent Loop BB4_497 Depth=2
                                        ; =>    This Inner Loop Header: Depth=3
	flat_load_b64 v[2:3], v[14:15] th:TH_LOAD_NT
	s_clause 0x1
	flat_load_b64 v[28:29], v[10:11] th:TH_LOAD_NT
	flat_load_b64 v[62:63], v[10:11] offset:256 th:TH_LOAD_NT
	flat_load_b64 v[72:73], v[14:15] offset:256 th:TH_LOAD_NT
	s_wait_xcnt 0x1
	v_add_nc_u64_e32 v[10:11], v[10:11], v[70:71]
	s_wait_xcnt 0x0
	v_add_nc_u64_e32 v[14:15], v[14:15], v[70:71]
	v_dual_mov_b32 v75, v113 :: v_dual_mov_b32 v77, v113
	s_wait_loadcnt_dscnt 0x202
	v_add_nc_u64_e32 v[2:3], v[2:3], v[28:29]
	s_wait_loadcnt_dscnt 0x0
	v_add_nc_u64_e32 v[62:63], v[72:73], v[62:63]
	s_delay_alu instid0(VALU_DEP_2) | instskip(SKIP_1) | instid1(VALU_DEP_3)
	v_cmp_gt_i64_e32 vcc_lo, 0, v[2:3]
	v_sub_nc_u64_e32 v[28:29], 0, v[2:3]
	v_cmp_gt_i64_e64 s13, 0, v[62:63]
	v_sub_nc_u64_e32 v[72:73], 0, v[62:63]
	s_and_b32 vcc_lo, s77, vcc_lo
	v_dual_cndmask_b32 v3, v3, v29 :: v_dual_cndmask_b32 v2, v2, v28
	s_and_b32 s13, s77, s13
	s_delay_alu instid0(VALU_DEP_1) | instid1(SALU_CYCLE_1)
	v_dual_cndmask_b32 v63, v63, v73, s13 :: v_dual_mov_b32 v112, v2
	s_delay_alu instid0(VALU_DEP_1) | instskip(NEXT) | instid1(VALU_DEP_1)
	v_mul_u64_e32 v[28:29], v[112:113], v[18:19]
	v_mov_b32_e32 v112, v29
	s_delay_alu instid0(VALU_DEP_1) | instskip(NEXT) | instid1(VALU_DEP_1)
	v_mad_nc_u64_u32 v[28:29], v3, v8, v[112:113]
	v_dual_cndmask_b32 v62, v62, v72, s13 :: v_dual_mov_b32 v112, v28
	s_delay_alu instid0(VALU_DEP_2) | instskip(NEXT) | instid1(VALU_DEP_2)
	v_mov_b32_e32 v74, v29
	v_mad_nc_u64_u32 v[28:29], v2, v9, v[112:113]
	s_delay_alu instid0(VALU_DEP_1) | instskip(NEXT) | instid1(VALU_DEP_3)
	v_mov_b32_e32 v112, v29
	v_mad_nc_u64_u32 v[72:73], v3, v9, v[74:75]
	v_mov_b32_e32 v75, s21
	s_delay_alu instid0(VALU_DEP_2) | instskip(SKIP_1) | instid1(VALU_DEP_1)
	v_add_nc_u64_e32 v[28:29], v[72:73], v[112:113]
	v_mov_b32_e32 v112, v62
	v_mul_u64_e32 v[72:73], v[112:113], v[18:19]
	s_delay_alu instid0(VALU_DEP_3) | instskip(NEXT) | instid1(VALU_DEP_2)
	v_mul_u64_e32 v[78:79], s[16:17], v[28:29]
	v_mov_b32_e32 v112, v73
	s_delay_alu instid0(VALU_DEP_2) | instskip(NEXT) | instid1(VALU_DEP_2)
	v_sub_nc_u64_e32 v[2:3], v[2:3], v[78:79]
	v_mad_nc_u64_u32 v[72:73], v63, v8, v[112:113]
	v_sub_nc_u32_e32 v23, v23, v52
	s_delay_alu instid0(VALU_DEP_3) | instskip(NEXT) | instid1(VALU_DEP_1)
	v_cmp_le_u64_e64 s15, s[16:17], v[2:3]
	v_cndmask_b32_e64 v74, 0, 1, s15
	s_delay_alu instid0(VALU_DEP_4) | instskip(NEXT) | instid1(VALU_DEP_4)
	v_dual_mov_b32 v112, v72 :: v_dual_mov_b32 v76, v73
	v_cmp_gt_i32_e64 s14, 1, v23
	s_delay_alu instid0(VALU_DEP_3) | instskip(NEXT) | instid1(VALU_DEP_3)
	v_add_nc_u64_e32 v[2:3], v[28:29], v[74:75]
	v_mad_nc_u64_u32 v[72:73], v62, v9, v[112:113]
	s_or_b32 s45, s14, s45
	s_delay_alu instid0(VALU_DEP_2) | instskip(NEXT) | instid1(VALU_DEP_2)
	v_sub_nc_u64_e32 v[28:29], 0, v[2:3]
	v_dual_mov_b32 v89, s21 :: v_dual_mov_b32 v112, v73
	v_mad_nc_u64_u32 v[76:77], v63, v9, v[76:77]
	s_delay_alu instid0(VALU_DEP_3) | instskip(NEXT) | instid1(VALU_DEP_2)
	v_cndmask_b32_e32 v3, v3, v29, vcc_lo
	v_add_nc_u64_e32 v[72:73], v[76:77], v[112:113]
	s_delay_alu instid0(VALU_DEP_1) | instskip(NEXT) | instid1(VALU_DEP_1)
	v_mul_u64_e32 v[76:77], s[16:17], v[72:73]
	v_sub_nc_u64_e32 v[62:63], v[62:63], v[76:77]
	s_delay_alu instid0(VALU_DEP_1) | instskip(NEXT) | instid1(VALU_DEP_1)
	v_cmp_le_u64_e64 s15, s[16:17], v[62:63]
	v_cndmask_b32_e64 v88, 0, 1, s15
	s_delay_alu instid0(VALU_DEP_1) | instskip(NEXT) | instid1(VALU_DEP_1)
	v_add_nc_u64_e32 v[62:63], v[72:73], v[88:89]
	v_sub_nc_u64_e32 v[72:73], 0, v[62:63]
	s_delay_alu instid0(VALU_DEP_1) | instskip(NEXT) | instid1(VALU_DEP_2)
	v_dual_cndmask_b32 v2, v2, v28, vcc_lo :: v_dual_cndmask_b32 v29, v63, v73, s13
	v_cndmask_b32_e64 v28, v62, v72, s13
	s_clause 0x1
	flat_store_b64 v[12:13], v[2:3] th:TH_STORE_NT
	flat_store_b64 v[12:13], v[28:29] offset:256 th:TH_STORE_NT
	s_clause 0x1
	flat_store_b64 v[16:17], v[2:3] th:TH_STORE_NT
	flat_store_b64 v[16:17], v[28:29] offset:256 th:TH_STORE_NT
	s_wait_xcnt 0x2
	v_add_nc_u64_e32 v[12:13], v[12:13], v[70:71]
	s_wait_xcnt 0x0
	v_add_nc_u64_e32 v[16:17], v[16:17], v[70:71]
	s_and_not1_b32 exec_lo, exec_lo, s45
	s_cbranch_execnz .LBB4_611
; %bb.612:                              ;   in Loop: Header=BB4_497 Depth=2
	s_or_b32 exec_lo, exec_lo, s45
.LBB4_613:                              ;   in Loop: Header=BB4_497 Depth=2
	s_delay_alu instid0(SALU_CYCLE_1) | instskip(SKIP_1) | instid1(VALU_DEP_1)
	s_or_b32 exec_lo, exec_lo, s44
	v_lshlrev_b32_e32 v2, 9, v60
	v_cmp_ne_u32_e32 vcc_lo, v21, v2
	s_and_b32 exec_lo, exec_lo, vcc_lo
	s_cbranch_execz .LBB4_624
; %bb.614:                              ;   in Loop: Header=BB4_497 Depth=2
	v_mov_b64_e32 v[8:9], -1
	s_cmp_lt_i32 s20, 1
	s_cbranch_scc1 .LBB4_619
; %bb.615:                              ;   in Loop: Header=BB4_497 Depth=2
	s_cmp_lg_u32 s20, 1
	s_cbranch_scc1 .LBB4_617
; %bb.616:                              ;   in Loop: Header=BB4_497 Depth=2
	s_mov_b64 s[44:45], 0x8000000000000000
	s_mov_b64 s[14:15], 1
	s_branch .LBB4_618
.LBB4_617:                              ;   in Loop: Header=BB4_497 Depth=2
	s_mov_b64 s[14:15], 3
	s_mov_b64 s[44:45], 0
.LBB4_618:                              ;   in Loop: Header=BB4_497 Depth=2
	v_cmp_lt_u64_e64 s13, s[14:15], s[16:17]
	s_or_b64 s[78:79], s[44:45], 2.0
	s_and_b32 s13, s13, exec_lo
	s_cselect_b32 s13, 0, s16
	s_cselect_b32 s45, s45, s79
	;; [unrolled: 1-line block ×3, first 2 shown]
	s_sub_co_i32 s13, s14, s13
	s_or_b64 s[14:15], s[44:45], 0x2000000000000000
	s_lshl_b32 s13, s13, 1
	s_delay_alu instid0(SALU_CYCLE_1) | instskip(NEXT) | instid1(SALU_CYCLE_1)
	s_or_b32 s20, s13, 1
	v_cmp_lt_u64_e64 s13, s[20:21], s[16:17]
	s_and_b32 s13, s13, exec_lo
	s_cselect_b32 s15, s45, s15
	s_cselect_b32 s14, s44, s14
	s_sub_nc_u64 s[44:45], s[20:21], s[16:17]
	s_delay_alu instid0(SALU_CYCLE_1) | instskip(SKIP_1) | instid1(VALU_DEP_1)
	v_min_u64 v[8:9], s[20:21], s[44:45]
	s_or_b64 s[44:45], s[14:15], 0x1000000000000000
	v_lshlrev_b64_e32 v[8:9], 1, v[8:9]
	s_delay_alu instid0(VALU_DEP_1) | instskip(NEXT) | instid1(VALU_DEP_1)
	v_or_b32_e32 v8, 1, v8
	v_sub_nc_u64_e64 v[10:11], v[8:9], s[16:17]
	v_cmp_gt_u64_e32 vcc_lo, s[16:17], v[8:9]
	s_delay_alu instid0(VALU_DEP_2) | instskip(SKIP_3) | instid1(SALU_CYCLE_1)
	v_min_u64 v[8:9], v[8:9], v[10:11]
	s_and_b32 s13, vcc_lo, exec_lo
	s_cselect_b32 s15, s15, s45
	s_cselect_b32 s14, s14, s44
	s_or_b64 s[44:45], s[14:15], 0x800000000000000
	s_delay_alu instid0(VALU_DEP_1) | instskip(NEXT) | instid1(VALU_DEP_1)
	v_lshlrev_b64_e32 v[8:9], 1, v[8:9]
	v_or_b32_e32 v8, 1, v8
	s_delay_alu instid0(VALU_DEP_1) | instskip(SKIP_1) | instid1(VALU_DEP_2)
	v_sub_nc_u64_e64 v[10:11], v[8:9], s[16:17]
	v_cmp_gt_u64_e32 vcc_lo, s[16:17], v[8:9]
	v_min_u64 v[8:9], v[8:9], v[10:11]
	s_and_b32 s13, vcc_lo, exec_lo
	s_cselect_b32 s15, s15, s45
	s_cselect_b32 s14, s14, s44
	s_delay_alu instid0(SALU_CYCLE_1) | instskip(NEXT) | instid1(VALU_DEP_1)
	s_or_b64 s[44:45], s[14:15], 0x400000000000000
	v_lshlrev_b64_e32 v[8:9], 1, v[8:9]
	s_delay_alu instid0(VALU_DEP_1) | instskip(NEXT) | instid1(VALU_DEP_1)
	v_or_b32_e32 v8, 1, v8
	v_sub_nc_u64_e64 v[10:11], v[8:9], s[16:17]
	v_cmp_gt_u64_e32 vcc_lo, s[16:17], v[8:9]
	s_delay_alu instid0(VALU_DEP_2) | instskip(SKIP_3) | instid1(SALU_CYCLE_1)
	v_min_u64 v[8:9], v[8:9], v[10:11]
	s_and_b32 s13, vcc_lo, exec_lo
	s_cselect_b32 s15, s15, s45
	s_cselect_b32 s14, s14, s44
	s_or_b64 s[44:45], s[14:15], 0x200000000000000
	s_delay_alu instid0(VALU_DEP_1) | instskip(NEXT) | instid1(VALU_DEP_1)
	v_lshlrev_b64_e32 v[8:9], 1, v[8:9]
	v_or_b32_e32 v8, 1, v8
	s_delay_alu instid0(VALU_DEP_1) | instskip(SKIP_1) | instid1(VALU_DEP_2)
	v_sub_nc_u64_e64 v[10:11], v[8:9], s[16:17]
	v_cmp_gt_u64_e32 vcc_lo, s[16:17], v[8:9]
	v_min_u64 v[8:9], v[8:9], v[10:11]
	s_and_b32 s13, vcc_lo, exec_lo
	s_cselect_b32 s15, s15, s45
	s_cselect_b32 s14, s14, s44
	s_delay_alu instid0(SALU_CYCLE_1) | instskip(NEXT) | instid1(VALU_DEP_1)
	;; [unrolled: 23-line block ×29, first 2 shown]
	s_or_b64 s[44:45], s[14:15], 4
	v_lshlrev_b64_e32 v[8:9], 1, v[8:9]
	s_delay_alu instid0(VALU_DEP_1) | instskip(NEXT) | instid1(VALU_DEP_1)
	v_or_b32_e32 v8, 1, v8
	v_sub_nc_u64_e64 v[10:11], v[8:9], s[16:17]
	v_cmp_gt_u64_e32 vcc_lo, s[16:17], v[8:9]
	s_delay_alu instid0(VALU_DEP_2) | instskip(SKIP_3) | instid1(SALU_CYCLE_1)
	v_min_u64 v[8:9], v[8:9], v[10:11]
	s_and_b32 s13, vcc_lo, exec_lo
	s_cselect_b32 s15, s15, s45
	s_cselect_b32 s14, s14, s44
	s_or_b64 s[44:45], s[14:15], 2
	s_delay_alu instid0(VALU_DEP_1) | instskip(NEXT) | instid1(VALU_DEP_1)
	v_lshlrev_b64_e32 v[8:9], 1, v[8:9]
	v_or_b32_e32 v8, 1, v8
	s_delay_alu instid0(VALU_DEP_1) | instskip(SKIP_1) | instid1(VALU_DEP_2)
	v_sub_nc_u64_e64 v[10:11], v[8:9], s[16:17]
	v_cmp_gt_u64_e32 vcc_lo, s[16:17], v[8:9]
	v_min_u64 v[8:9], v[8:9], v[10:11]
	s_and_b32 s13, vcc_lo, exec_lo
	s_cselect_b32 s13, s15, s45
	s_cselect_b32 s14, s14, s44
	s_delay_alu instid0(VALU_DEP_1) | instskip(NEXT) | instid1(VALU_DEP_1)
	v_lshlrev_b64_e32 v[8:9], 1, v[8:9]
	v_or_b32_e32 v8, 1, v8
	s_delay_alu instid0(VALU_DEP_1) | instskip(SKIP_2) | instid1(VALU_DEP_1)
	v_cmp_le_u64_e32 vcc_lo, s[16:17], v[8:9]
	v_mov_b32_e32 v9, s13
	v_cndmask_b32_e64 v8, 0, 1, vcc_lo
	v_or_b32_e32 v8, s14, v8
.LBB4_619:                              ;   in Loop: Header=BB4_497 Depth=2
	v_lshlrev_b32_e32 v3, 5, v23
	s_delay_alu instid0(VALU_DEP_1) | instskip(NEXT) | instid1(VALU_DEP_1)
	v_sub_nc_u32_e32 v3, v22, v3
	v_ashrrev_i32_e32 v10, 31, v3
	s_delay_alu instid0(VALU_DEP_1) | instskip(NEXT) | instid1(VALU_DEP_1)
	v_lshrrev_b32_e32 v10, 27, v10
	v_add_nc_u32_e32 v10, v3, v10
	s_delay_alu instid0(VALU_DEP_1) | instskip(NEXT) | instid1(VALU_DEP_1)
	v_and_b32_e32 v11, 0x1fffffe0, v10
	v_dual_lshlrev_b32 v10, 3, v10 :: v_dual_sub_nc_u32 v3, v3, v11
	s_delay_alu instid0(VALU_DEP_1) | instskip(NEXT) | instid1(VALU_DEP_1)
	v_and_b32_e32 v10, 0xffffff00, v10
	v_lshl_add_u32 v10, v3, 3, v10
	s_delay_alu instid0(VALU_DEP_1) | instskip(NEXT) | instid1(VALU_DEP_1)
	v_add_nc_u32_e32 v3, v2, v10
	v_sub_nc_u32_e32 v22, v21, v3
	s_delay_alu instid0(VALU_DEP_1)
	v_cmp_lt_i32_e32 vcc_lo, 7, v22
	s_and_b32 exec_lo, exec_lo, vcc_lo
	s_cbranch_execz .LBB4_624
; %bb.620:                              ;   in Loop: Header=BB4_497 Depth=2
	s_trap 2
	ds_load_b64 v[14:15], v10
	v_add3_u32 v2, v2, v20, v10
	v_mov_b32_e32 v19, v113
	s_cmp_lt_i32 s75, 0
	v_mov_b32_e32 v18, v8
	s_mov_b32 s15, 0
	v_ashrrev_i32_e32 v3, 31, v2
	s_cselect_b32 s20, -1, 0
	s_delay_alu instid0(VALU_DEP_1)
	v_add_nc_u64_e32 v[10:11], v[2:3], v[46:47]
	v_add_nc_u64_e32 v[12:13], v[2:3], v[56:57]
	;; [unrolled: 1-line block ×3, first 2 shown]
	s_wait_dscnt 0x0
	v_add_nc_u64_e32 v[14:15], v[14:15], v[2:3]
.LBB4_621:                              ;   Parent Loop BB4_47 Depth=1
                                        ;     Parent Loop BB4_497 Depth=2
                                        ; =>    This Loop Header: Depth=3
                                        ;         Child Loop BB4_622 Depth 4
	flat_load_b64 v[2:3], v[10:11] th:TH_LOAD_NT
	flat_load_b64 v[20:21], v[14:15] th:TH_LOAD_NT
	s_mov_b64 s[44:45], 0
	s_mov_b32 s75, -1
	v_mov_b32_e32 v29, v113
	s_wait_loadcnt_dscnt 0x0
	v_add_nc_u64_e32 v[2:3], v[20:21], v[2:3]
	s_delay_alu instid0(VALU_DEP_1) | instskip(SKIP_2) | instid1(VALU_DEP_1)
	v_cmp_gt_i64_e32 vcc_lo, 0, v[2:3]
	v_sub_nc_u64_e32 v[20:21], 0, v[2:3]
	s_and_b32 vcc_lo, s20, vcc_lo
	v_dual_cndmask_b32 v3, v3, v21 :: v_dual_cndmask_b32 v2, v2, v20
	s_delay_alu instid0(VALU_DEP_1) | instskip(NEXT) | instid1(VALU_DEP_1)
	v_mov_b32_e32 v112, v2
	v_mul_u64_e32 v[20:21], v[112:113], v[18:19]
	s_delay_alu instid0(VALU_DEP_1) | instskip(NEXT) | instid1(VALU_DEP_1)
	v_mov_b32_e32 v112, v21
	v_mad_nc_u64_u32 v[20:21], v3, v8, v[112:113]
	s_delay_alu instid0(VALU_DEP_1) | instskip(NEXT) | instid1(VALU_DEP_1)
	v_dual_mov_b32 v112, v20 :: v_dual_mov_b32 v28, v21
	v_mad_nc_u64_u32 v[20:21], v2, v9, v[112:113]
	s_delay_alu instid0(VALU_DEP_2) | instskip(NEXT) | instid1(VALU_DEP_2)
	v_mad_nc_u64_u32 v[28:29], v3, v9, v[28:29]
	v_mov_b32_e32 v112, v21
	s_delay_alu instid0(VALU_DEP_1) | instskip(NEXT) | instid1(VALU_DEP_1)
	v_add_nc_u64_e32 v[20:21], v[28:29], v[112:113]
	v_mul_u64_e32 v[28:29], s[16:17], v[20:21]
	s_delay_alu instid0(VALU_DEP_1) | instskip(SKIP_1) | instid1(VALU_DEP_2)
	v_sub_nc_u64_e32 v[2:3], v[2:3], v[28:29]
	v_mov_b32_e32 v29, s21
	v_cmp_le_u64_e64 s13, s[16:17], v[2:3]
	s_delay_alu instid0(VALU_DEP_1) | instskip(NEXT) | instid1(VALU_DEP_1)
	v_cndmask_b32_e64 v28, 0, 1, s13
	v_add_nc_u64_e32 v[2:3], v[20:21], v[28:29]
	s_delay_alu instid0(VALU_DEP_1) | instskip(NEXT) | instid1(VALU_DEP_1)
	v_sub_nc_u64_e32 v[20:21], 0, v[2:3]
	v_dual_cndmask_b32 v21, v3, v21 :: v_dual_cndmask_b32 v20, v2, v20
.LBB4_622:                              ;   Parent Loop BB4_47 Depth=1
                                        ;     Parent Loop BB4_497 Depth=2
                                        ;       Parent Loop BB4_621 Depth=3
                                        ; =>      This Inner Loop Header: Depth=4
	s_cmp_eq_u32 s44, 1
	s_cselect_b32 vcc_lo, -1, 0
	s_cmp_eq_u32 s44, 0
	s_wait_xcnt 0x0
	v_dual_cndmask_b32 v3, v13, v17 :: v_dual_cndmask_b32 v2, v12, v16
	s_cselect_b32 s13, -1, 0
	s_and_b32 s14, exec_lo, s75
	s_mov_b64 s[44:45], 1
	s_mov_b32 s75, 0
	v_add_nc_u64_e32 v[28:29], 0x100, v[2:3]
	flat_store_b64 v[2:3], v[20:21] th:TH_STORE_NT
	v_dual_cndmask_b32 v17, v17, v29 :: v_dual_cndmask_b32 v16, v16, v28
	v_dual_cndmask_b32 v13, v13, v29, s13 :: v_dual_cndmask_b32 v12, v12, v28, s13
	s_mov_b32 vcc_lo, s14
	s_cbranch_vccnz .LBB4_622
; %bb.623:                              ;   in Loop: Header=BB4_621 Depth=3
	v_sub_nc_u32_e32 v22, v22, v80
	s_wait_xcnt 0x2
	v_add_nc_u64_e32 v[10:11], v[10:11], v[102:103]
	s_wait_xcnt 0x1
	v_add_nc_u64_e32 v[14:15], v[14:15], v[102:103]
	v_add_nc_u64_e32 v[12:13], v[12:13], v[98:99]
	;; [unrolled: 1-line block ×3, first 2 shown]
	v_cmp_gt_i32_e32 vcc_lo, 8, v22
	s_or_b32 s15, vcc_lo, s15
	s_wait_xcnt 0x0
	s_and_not1_b32 exec_lo, exec_lo, s15
	s_cbranch_execnz .LBB4_621
.LBB4_624:                              ;   in Loop: Header=BB4_497 Depth=2
	s_or_b32 exec_lo, exec_lo, s76
	s_mov_b32 s13, 0
.LBB4_625:                              ;   in Loop: Header=BB4_497 Depth=2
	s_delay_alu instid0(SALU_CYCLE_1)
	s_and_b32 vcc_lo, exec_lo, s13
	s_cbranch_vccz .LBB4_635
; %bb.626:                              ;   in Loop: Header=BB4_497 Depth=2
	s_mov_b32 s13, -1
	s_and_saveexec_b32 s14, s11
	s_cbranch_execz .LBB4_628
; %bb.627:                              ;   in Loop: Header=BB4_497 Depth=2
	ds_load_b32 v2, v0 offset:720
	s_wait_dscnt 0x0
	v_and_b32_e32 v2, 15, v2
	s_delay_alu instid0(VALU_DEP_1)
	v_cmp_eq_u32_e32 vcc_lo, 0, v2
	s_or_not1_b32 s13, vcc_lo, exec_lo
.LBB4_628:                              ;   in Loop: Header=BB4_497 Depth=2
	s_or_b32 exec_lo, exec_lo, s14
	s_and_saveexec_b32 s14, s7
	s_cbranch_execz .LBB4_630
; %bb.629:                              ;   in Loop: Header=BB4_497 Depth=2
	ds_load_b32 v2, v0 offset:784
	s_wait_dscnt 0x0
	v_and_b32_e32 v2, 15, v2
	s_delay_alu instid0(VALU_DEP_1) | instskip(SKIP_3) | instid1(SALU_CYCLE_1)
	v_cmp_eq_u32_e32 vcc_lo, 0, v2
	s_and_b32 s15, s13, vcc_lo
	s_and_not1_b32 s13, s13, exec_lo
	s_and_b32 s15, s15, exec_lo
	s_or_b32 s13, s13, s15
.LBB4_630:                              ;   in Loop: Header=BB4_497 Depth=2
	s_or_b32 exec_lo, exec_lo, s14
	s_xor_b32 s13, s13, -1
	s_delay_alu instid0(SALU_CYCLE_1) | instskip(SKIP_1) | instid1(VALU_DEP_1)
	v_cndmask_b32_e64 v2, 0, 1, s13
	s_mov_b32 s13, -1
	v_cmp_ne_u32_e32 vcc_lo, 0, v2
	v_alignbit_b32 v2, v58, v58, 1
	s_cbranch_vccz .LBB4_636
; %bb.631:                              ;   in Loop: Header=BB4_497 Depth=2
	s_delay_alu instid0(VALU_DEP_1) | instskip(SKIP_3) | instid1(SALU_CYCLE_1)
	v_readfirstlane_b32 s13, v2
	v_readfirstlane_b32 s75, v2
	s_mov_b32 s44, -1
	s_and_b32 s20, s13, 0x7fffffff
	s_mov_b64 s[16:17], s[20:21]
	v_mov_b32_e32 v18, 0
	s_cbranch_execnz .LBB4_637
.LBB4_632:                              ;   in Loop: Header=BB4_497 Depth=2
	v_readfirstlane_b32 s13, v2
	v_mov_b64_e32 v[16:17], -1
	v_readfirstlane_b32 s75, v2
	s_and_b32 s20, s13, 0x7fffffff
	s_delay_alu instid0(SALU_CYCLE_1)
	s_cmp_lt_i32 s20, 1
	s_cbranch_scc1 .LBB4_640
; %bb.633:                              ;   in Loop: Header=BB4_497 Depth=2
	s_cmp_lg_u32 s20, 1
	s_cbranch_scc1 .LBB4_638
; %bb.634:                              ;   in Loop: Header=BB4_497 Depth=2
	s_mov_b64 s[16:17], 0x8000000000000000
	s_mov_b64 s[14:15], 1
	s_branch .LBB4_639
.LBB4_635:                              ;   in Loop: Header=BB4_497 Depth=2
	v_cmp_lt_i32_e64 s13, 0, v41
	s_and_saveexec_b32 s14, s2
	s_cbranch_execnz .LBB4_677
	s_branch .LBB4_576
.LBB4_636:                              ;   in Loop: Header=BB4_497 Depth=2
	s_mov_b32 s44, 0
                                        ; implicit-def: $sgpr75
                                        ; implicit-def: $sgpr16_sgpr17
	v_mov_b32_e32 v18, 0
	s_and_not1_b32 vcc_lo, exec_lo, s13
	s_cbranch_vccz .LBB4_632
.LBB4_637:                              ;   in Loop: Header=BB4_497 Depth=2
	v_dual_mov_b32 v2, v0 :: v_dual_mov_b32 v19, v109
	s_and_saveexec_b32 s76, s44
	s_cbranch_execnz .LBB4_658
	s_branch .LBB4_676
.LBB4_638:                              ;   in Loop: Header=BB4_497 Depth=2
	s_mov_b64 s[14:15], 3
	s_mov_b64 s[16:17], 0
.LBB4_639:                              ;   in Loop: Header=BB4_497 Depth=2
	v_cmp_lt_u64_e64 s13, s[14:15], s[20:21]
	s_or_b64 s[76:77], s[16:17], 2.0
	s_mov_b32 s15, s21
	s_and_b32 s13, s13, exec_lo
	s_cselect_b32 s13, 0, s20
	s_cselect_b32 s17, s17, s77
	;; [unrolled: 1-line block ×3, first 2 shown]
	s_sub_co_i32 s13, s14, s13
	s_or_b64 s[76:77], s[16:17], 0x2000000000000000
	s_lshl_b32 s13, s13, 1
	s_delay_alu instid0(SALU_CYCLE_1) | instskip(NEXT) | instid1(SALU_CYCLE_1)
	s_or_b32 s14, s13, 1
	v_cmp_lt_u64_e64 s13, s[14:15], s[20:21]
	s_and_b32 s13, s13, exec_lo
	s_cselect_b32 s17, s17, s77
	s_cselect_b32 s16, s16, s76
	s_sub_nc_u64 s[76:77], s[14:15], s[20:21]
	s_delay_alu instid0(SALU_CYCLE_1) | instskip(SKIP_1) | instid1(VALU_DEP_1)
	v_min_u64 v[8:9], s[14:15], s[76:77]
	s_or_b64 s[14:15], s[16:17], 0x1000000000000000
	v_lshlrev_b64_e32 v[8:9], 1, v[8:9]
	s_delay_alu instid0(VALU_DEP_1) | instskip(NEXT) | instid1(VALU_DEP_1)
	v_or_b32_e32 v8, 1, v8
	v_sub_nc_u64_e64 v[10:11], v[8:9], s[20:21]
	v_cmp_gt_u64_e32 vcc_lo, s[20:21], v[8:9]
	s_delay_alu instid0(VALU_DEP_2) | instskip(SKIP_3) | instid1(SALU_CYCLE_1)
	v_min_u64 v[8:9], v[8:9], v[10:11]
	s_and_b32 s13, vcc_lo, exec_lo
	s_cselect_b32 s15, s17, s15
	s_cselect_b32 s14, s16, s14
	s_or_b64 s[16:17], s[14:15], 0x800000000000000
	s_delay_alu instid0(VALU_DEP_1) | instskip(NEXT) | instid1(VALU_DEP_1)
	v_lshlrev_b64_e32 v[8:9], 1, v[8:9]
	v_or_b32_e32 v8, 1, v8
	s_delay_alu instid0(VALU_DEP_1) | instskip(SKIP_1) | instid1(VALU_DEP_2)
	v_sub_nc_u64_e64 v[10:11], v[8:9], s[20:21]
	v_cmp_gt_u64_e32 vcc_lo, s[20:21], v[8:9]
	v_min_u64 v[8:9], v[8:9], v[10:11]
	s_and_b32 s13, vcc_lo, exec_lo
	s_cselect_b32 s15, s15, s17
	s_cselect_b32 s14, s14, s16
	s_delay_alu instid0(SALU_CYCLE_1) | instskip(NEXT) | instid1(VALU_DEP_1)
	s_or_b64 s[16:17], s[14:15], 0x400000000000000
	v_lshlrev_b64_e32 v[8:9], 1, v[8:9]
	s_delay_alu instid0(VALU_DEP_1) | instskip(NEXT) | instid1(VALU_DEP_1)
	v_or_b32_e32 v8, 1, v8
	v_sub_nc_u64_e64 v[10:11], v[8:9], s[20:21]
	v_cmp_gt_u64_e32 vcc_lo, s[20:21], v[8:9]
	s_delay_alu instid0(VALU_DEP_2) | instskip(SKIP_3) | instid1(SALU_CYCLE_1)
	v_min_u64 v[8:9], v[8:9], v[10:11]
	s_and_b32 s13, vcc_lo, exec_lo
	s_cselect_b32 s15, s15, s17
	s_cselect_b32 s14, s14, s16
	s_or_b64 s[16:17], s[14:15], 0x200000000000000
	s_delay_alu instid0(VALU_DEP_1) | instskip(NEXT) | instid1(VALU_DEP_1)
	v_lshlrev_b64_e32 v[8:9], 1, v[8:9]
	v_or_b32_e32 v8, 1, v8
	s_delay_alu instid0(VALU_DEP_1) | instskip(SKIP_1) | instid1(VALU_DEP_2)
	v_sub_nc_u64_e64 v[10:11], v[8:9], s[20:21]
	v_cmp_gt_u64_e32 vcc_lo, s[20:21], v[8:9]
	v_min_u64 v[8:9], v[8:9], v[10:11]
	s_and_b32 s13, vcc_lo, exec_lo
	s_cselect_b32 s15, s15, s17
	s_cselect_b32 s14, s14, s16
	s_delay_alu instid0(SALU_CYCLE_1) | instskip(NEXT) | instid1(VALU_DEP_1)
	s_or_b64 s[16:17], s[14:15], 0x100000000000000
	v_lshlrev_b64_e32 v[8:9], 1, v[8:9]
	s_delay_alu instid0(VALU_DEP_1) | instskip(NEXT) | instid1(VALU_DEP_1)
	v_or_b32_e32 v8, 1, v8
	v_sub_nc_u64_e64 v[10:11], v[8:9], s[20:21]
	v_cmp_gt_u64_e32 vcc_lo, s[20:21], v[8:9]
	s_delay_alu instid0(VALU_DEP_2) | instskip(SKIP_3) | instid1(SALU_CYCLE_1)
	v_min_u64 v[8:9], v[8:9], v[10:11]
	s_and_b32 s13, vcc_lo, exec_lo
	s_cselect_b32 s15, s15, s17
	s_cselect_b32 s14, s14, s16
	s_or_b64 s[16:17], s[14:15], 0x80000000000000
	s_delay_alu instid0(VALU_DEP_1) | instskip(NEXT) | instid1(VALU_DEP_1)
	v_lshlrev_b64_e32 v[8:9], 1, v[8:9]
	v_or_b32_e32 v8, 1, v8
	s_delay_alu instid0(VALU_DEP_1) | instskip(SKIP_1) | instid1(VALU_DEP_2)
	v_sub_nc_u64_e64 v[10:11], v[8:9], s[20:21]
	v_cmp_gt_u64_e32 vcc_lo, s[20:21], v[8:9]
	v_min_u64 v[8:9], v[8:9], v[10:11]
	s_and_b32 s13, vcc_lo, exec_lo
	s_cselect_b32 s15, s15, s17
	s_cselect_b32 s14, s14, s16
	s_delay_alu instid0(SALU_CYCLE_1) | instskip(NEXT) | instid1(VALU_DEP_1)
	s_or_b64 s[16:17], s[14:15], 0x40000000000000
	v_lshlrev_b64_e32 v[8:9], 1, v[8:9]
	s_delay_alu instid0(VALU_DEP_1) | instskip(NEXT) | instid1(VALU_DEP_1)
	v_or_b32_e32 v8, 1, v8
	v_sub_nc_u64_e64 v[10:11], v[8:9], s[20:21]
	v_cmp_gt_u64_e32 vcc_lo, s[20:21], v[8:9]
	s_delay_alu instid0(VALU_DEP_2) | instskip(SKIP_3) | instid1(SALU_CYCLE_1)
	v_min_u64 v[8:9], v[8:9], v[10:11]
	s_and_b32 s13, vcc_lo, exec_lo
	s_cselect_b32 s15, s15, s17
	s_cselect_b32 s14, s14, s16
	s_or_b64 s[16:17], s[14:15], 0x20000000000000
	s_delay_alu instid0(VALU_DEP_1) | instskip(NEXT) | instid1(VALU_DEP_1)
	v_lshlrev_b64_e32 v[8:9], 1, v[8:9]
	v_or_b32_e32 v8, 1, v8
	s_delay_alu instid0(VALU_DEP_1) | instskip(SKIP_1) | instid1(VALU_DEP_2)
	v_sub_nc_u64_e64 v[10:11], v[8:9], s[20:21]
	v_cmp_gt_u64_e32 vcc_lo, s[20:21], v[8:9]
	v_min_u64 v[8:9], v[8:9], v[10:11]
	s_and_b32 s13, vcc_lo, exec_lo
	s_cselect_b32 s15, s15, s17
	s_cselect_b32 s14, s14, s16
	s_delay_alu instid0(SALU_CYCLE_1) | instskip(NEXT) | instid1(VALU_DEP_1)
	s_or_b64 s[16:17], s[14:15], 0x10000000000000
	v_lshlrev_b64_e32 v[8:9], 1, v[8:9]
	s_delay_alu instid0(VALU_DEP_1) | instskip(NEXT) | instid1(VALU_DEP_1)
	v_or_b32_e32 v8, 1, v8
	v_sub_nc_u64_e64 v[10:11], v[8:9], s[20:21]
	v_cmp_gt_u64_e32 vcc_lo, s[20:21], v[8:9]
	s_delay_alu instid0(VALU_DEP_2) | instskip(SKIP_3) | instid1(SALU_CYCLE_1)
	v_min_u64 v[8:9], v[8:9], v[10:11]
	s_and_b32 s13, vcc_lo, exec_lo
	s_cselect_b32 s15, s15, s17
	s_cselect_b32 s14, s14, s16
	s_or_b64 s[16:17], s[14:15], 0x8000000000000
	s_delay_alu instid0(VALU_DEP_1) | instskip(NEXT) | instid1(VALU_DEP_1)
	v_lshlrev_b64_e32 v[8:9], 1, v[8:9]
	v_or_b32_e32 v8, 1, v8
	s_delay_alu instid0(VALU_DEP_1) | instskip(SKIP_1) | instid1(VALU_DEP_2)
	v_sub_nc_u64_e64 v[10:11], v[8:9], s[20:21]
	v_cmp_gt_u64_e32 vcc_lo, s[20:21], v[8:9]
	v_min_u64 v[8:9], v[8:9], v[10:11]
	s_and_b32 s13, vcc_lo, exec_lo
	s_cselect_b32 s15, s15, s17
	s_cselect_b32 s14, s14, s16
	s_delay_alu instid0(SALU_CYCLE_1) | instskip(NEXT) | instid1(VALU_DEP_1)
	s_or_b64 s[16:17], s[14:15], 0x4000000000000
	v_lshlrev_b64_e32 v[8:9], 1, v[8:9]
	s_delay_alu instid0(VALU_DEP_1) | instskip(NEXT) | instid1(VALU_DEP_1)
	v_or_b32_e32 v8, 1, v8
	v_sub_nc_u64_e64 v[10:11], v[8:9], s[20:21]
	v_cmp_gt_u64_e32 vcc_lo, s[20:21], v[8:9]
	s_delay_alu instid0(VALU_DEP_2) | instskip(SKIP_3) | instid1(SALU_CYCLE_1)
	v_min_u64 v[8:9], v[8:9], v[10:11]
	s_and_b32 s13, vcc_lo, exec_lo
	s_cselect_b32 s15, s15, s17
	s_cselect_b32 s14, s14, s16
	s_or_b64 s[16:17], s[14:15], 0x2000000000000
	s_delay_alu instid0(VALU_DEP_1) | instskip(NEXT) | instid1(VALU_DEP_1)
	v_lshlrev_b64_e32 v[8:9], 1, v[8:9]
	v_or_b32_e32 v8, 1, v8
	s_delay_alu instid0(VALU_DEP_1) | instskip(SKIP_1) | instid1(VALU_DEP_2)
	v_sub_nc_u64_e64 v[10:11], v[8:9], s[20:21]
	v_cmp_gt_u64_e32 vcc_lo, s[20:21], v[8:9]
	v_min_u64 v[8:9], v[8:9], v[10:11]
	s_and_b32 s13, vcc_lo, exec_lo
	s_cselect_b32 s15, s15, s17
	s_cselect_b32 s14, s14, s16
	s_delay_alu instid0(SALU_CYCLE_1) | instskip(NEXT) | instid1(VALU_DEP_1)
	s_or_b64 s[16:17], s[14:15], 0x1000000000000
	v_lshlrev_b64_e32 v[8:9], 1, v[8:9]
	s_delay_alu instid0(VALU_DEP_1) | instskip(NEXT) | instid1(VALU_DEP_1)
	v_or_b32_e32 v8, 1, v8
	v_sub_nc_u64_e64 v[10:11], v[8:9], s[20:21]
	v_cmp_gt_u64_e32 vcc_lo, s[20:21], v[8:9]
	s_delay_alu instid0(VALU_DEP_2) | instskip(SKIP_3) | instid1(SALU_CYCLE_1)
	v_min_u64 v[8:9], v[8:9], v[10:11]
	s_and_b32 s13, vcc_lo, exec_lo
	s_cselect_b32 s15, s15, s17
	s_cselect_b32 s14, s14, s16
	s_or_b64 s[16:17], s[14:15], 0x800000000000
	s_delay_alu instid0(VALU_DEP_1) | instskip(NEXT) | instid1(VALU_DEP_1)
	v_lshlrev_b64_e32 v[8:9], 1, v[8:9]
	v_or_b32_e32 v8, 1, v8
	s_delay_alu instid0(VALU_DEP_1) | instskip(SKIP_1) | instid1(VALU_DEP_2)
	v_sub_nc_u64_e64 v[10:11], v[8:9], s[20:21]
	v_cmp_gt_u64_e32 vcc_lo, s[20:21], v[8:9]
	v_min_u64 v[8:9], v[8:9], v[10:11]
	s_and_b32 s13, vcc_lo, exec_lo
	s_cselect_b32 s15, s15, s17
	s_cselect_b32 s14, s14, s16
	s_delay_alu instid0(SALU_CYCLE_1) | instskip(NEXT) | instid1(VALU_DEP_1)
	s_or_b64 s[16:17], s[14:15], 0x400000000000
	v_lshlrev_b64_e32 v[8:9], 1, v[8:9]
	s_delay_alu instid0(VALU_DEP_1) | instskip(NEXT) | instid1(VALU_DEP_1)
	v_or_b32_e32 v8, 1, v8
	v_sub_nc_u64_e64 v[10:11], v[8:9], s[20:21]
	v_cmp_gt_u64_e32 vcc_lo, s[20:21], v[8:9]
	s_delay_alu instid0(VALU_DEP_2) | instskip(SKIP_3) | instid1(SALU_CYCLE_1)
	v_min_u64 v[8:9], v[8:9], v[10:11]
	s_and_b32 s13, vcc_lo, exec_lo
	s_cselect_b32 s15, s15, s17
	s_cselect_b32 s14, s14, s16
	s_or_b64 s[16:17], s[14:15], 0x200000000000
	s_delay_alu instid0(VALU_DEP_1) | instskip(NEXT) | instid1(VALU_DEP_1)
	v_lshlrev_b64_e32 v[8:9], 1, v[8:9]
	v_or_b32_e32 v8, 1, v8
	s_delay_alu instid0(VALU_DEP_1) | instskip(SKIP_1) | instid1(VALU_DEP_2)
	v_sub_nc_u64_e64 v[10:11], v[8:9], s[20:21]
	v_cmp_gt_u64_e32 vcc_lo, s[20:21], v[8:9]
	v_min_u64 v[8:9], v[8:9], v[10:11]
	s_and_b32 s13, vcc_lo, exec_lo
	s_cselect_b32 s15, s15, s17
	s_cselect_b32 s14, s14, s16
	s_delay_alu instid0(SALU_CYCLE_1) | instskip(NEXT) | instid1(VALU_DEP_1)
	s_or_b64 s[16:17], s[14:15], 0x100000000000
	v_lshlrev_b64_e32 v[8:9], 1, v[8:9]
	s_delay_alu instid0(VALU_DEP_1) | instskip(NEXT) | instid1(VALU_DEP_1)
	v_or_b32_e32 v8, 1, v8
	v_sub_nc_u64_e64 v[10:11], v[8:9], s[20:21]
	v_cmp_gt_u64_e32 vcc_lo, s[20:21], v[8:9]
	s_delay_alu instid0(VALU_DEP_2) | instskip(SKIP_3) | instid1(SALU_CYCLE_1)
	v_min_u64 v[8:9], v[8:9], v[10:11]
	s_and_b32 s13, vcc_lo, exec_lo
	s_cselect_b32 s15, s15, s17
	s_cselect_b32 s14, s14, s16
	s_or_b64 s[16:17], s[14:15], 0x80000000000
	s_delay_alu instid0(VALU_DEP_1) | instskip(NEXT) | instid1(VALU_DEP_1)
	v_lshlrev_b64_e32 v[8:9], 1, v[8:9]
	v_or_b32_e32 v8, 1, v8
	s_delay_alu instid0(VALU_DEP_1) | instskip(SKIP_1) | instid1(VALU_DEP_2)
	v_sub_nc_u64_e64 v[10:11], v[8:9], s[20:21]
	v_cmp_gt_u64_e32 vcc_lo, s[20:21], v[8:9]
	v_min_u64 v[8:9], v[8:9], v[10:11]
	s_and_b32 s13, vcc_lo, exec_lo
	s_cselect_b32 s15, s15, s17
	s_cselect_b32 s14, s14, s16
	s_delay_alu instid0(SALU_CYCLE_1) | instskip(NEXT) | instid1(VALU_DEP_1)
	s_or_b64 s[16:17], s[14:15], 0x40000000000
	v_lshlrev_b64_e32 v[8:9], 1, v[8:9]
	s_delay_alu instid0(VALU_DEP_1) | instskip(NEXT) | instid1(VALU_DEP_1)
	v_or_b32_e32 v8, 1, v8
	v_sub_nc_u64_e64 v[10:11], v[8:9], s[20:21]
	v_cmp_gt_u64_e32 vcc_lo, s[20:21], v[8:9]
	s_delay_alu instid0(VALU_DEP_2) | instskip(SKIP_3) | instid1(SALU_CYCLE_1)
	v_min_u64 v[8:9], v[8:9], v[10:11]
	s_and_b32 s13, vcc_lo, exec_lo
	s_cselect_b32 s15, s15, s17
	s_cselect_b32 s14, s14, s16
	s_or_b64 s[16:17], s[14:15], 0x20000000000
	s_delay_alu instid0(VALU_DEP_1) | instskip(NEXT) | instid1(VALU_DEP_1)
	v_lshlrev_b64_e32 v[8:9], 1, v[8:9]
	v_or_b32_e32 v8, 1, v8
	s_delay_alu instid0(VALU_DEP_1) | instskip(SKIP_1) | instid1(VALU_DEP_2)
	v_sub_nc_u64_e64 v[10:11], v[8:9], s[20:21]
	v_cmp_gt_u64_e32 vcc_lo, s[20:21], v[8:9]
	v_min_u64 v[8:9], v[8:9], v[10:11]
	s_and_b32 s13, vcc_lo, exec_lo
	s_cselect_b32 s15, s15, s17
	s_cselect_b32 s14, s14, s16
	s_delay_alu instid0(SALU_CYCLE_1) | instskip(NEXT) | instid1(VALU_DEP_1)
	s_or_b64 s[16:17], s[14:15], 0x10000000000
	v_lshlrev_b64_e32 v[8:9], 1, v[8:9]
	s_delay_alu instid0(VALU_DEP_1) | instskip(NEXT) | instid1(VALU_DEP_1)
	v_or_b32_e32 v8, 1, v8
	v_sub_nc_u64_e64 v[10:11], v[8:9], s[20:21]
	v_cmp_gt_u64_e32 vcc_lo, s[20:21], v[8:9]
	s_delay_alu instid0(VALU_DEP_2) | instskip(SKIP_3) | instid1(SALU_CYCLE_1)
	v_min_u64 v[8:9], v[8:9], v[10:11]
	s_and_b32 s13, vcc_lo, exec_lo
	s_cselect_b32 s15, s15, s17
	s_cselect_b32 s14, s14, s16
	s_or_b64 s[16:17], s[14:15], 0x8000000000
	s_delay_alu instid0(VALU_DEP_1) | instskip(NEXT) | instid1(VALU_DEP_1)
	v_lshlrev_b64_e32 v[8:9], 1, v[8:9]
	v_or_b32_e32 v8, 1, v8
	s_delay_alu instid0(VALU_DEP_1) | instskip(SKIP_1) | instid1(VALU_DEP_2)
	v_sub_nc_u64_e64 v[10:11], v[8:9], s[20:21]
	v_cmp_gt_u64_e32 vcc_lo, s[20:21], v[8:9]
	v_min_u64 v[8:9], v[8:9], v[10:11]
	s_and_b32 s13, vcc_lo, exec_lo
	s_cselect_b32 s15, s15, s17
	s_cselect_b32 s14, s14, s16
	s_delay_alu instid0(SALU_CYCLE_1) | instskip(NEXT) | instid1(VALU_DEP_1)
	s_or_b64 s[16:17], s[14:15], 0x4000000000
	v_lshlrev_b64_e32 v[8:9], 1, v[8:9]
	s_delay_alu instid0(VALU_DEP_1) | instskip(NEXT) | instid1(VALU_DEP_1)
	v_or_b32_e32 v8, 1, v8
	v_sub_nc_u64_e64 v[10:11], v[8:9], s[20:21]
	v_cmp_gt_u64_e32 vcc_lo, s[20:21], v[8:9]
	s_delay_alu instid0(VALU_DEP_2) | instskip(SKIP_3) | instid1(SALU_CYCLE_1)
	v_min_u64 v[8:9], v[8:9], v[10:11]
	s_and_b32 s13, vcc_lo, exec_lo
	s_cselect_b32 s15, s15, s17
	s_cselect_b32 s14, s14, s16
	s_or_b64 s[16:17], s[14:15], 0x2000000000
	s_delay_alu instid0(VALU_DEP_1) | instskip(NEXT) | instid1(VALU_DEP_1)
	v_lshlrev_b64_e32 v[8:9], 1, v[8:9]
	v_or_b32_e32 v8, 1, v8
	s_delay_alu instid0(VALU_DEP_1) | instskip(SKIP_1) | instid1(VALU_DEP_2)
	v_sub_nc_u64_e64 v[10:11], v[8:9], s[20:21]
	v_cmp_gt_u64_e32 vcc_lo, s[20:21], v[8:9]
	v_min_u64 v[8:9], v[8:9], v[10:11]
	s_and_b32 s13, vcc_lo, exec_lo
	s_cselect_b32 s15, s15, s17
	s_cselect_b32 s14, s14, s16
	s_delay_alu instid0(SALU_CYCLE_1) | instskip(NEXT) | instid1(VALU_DEP_1)
	s_or_b64 s[16:17], s[14:15], 0x1000000000
	v_lshlrev_b64_e32 v[8:9], 1, v[8:9]
	s_delay_alu instid0(VALU_DEP_1) | instskip(NEXT) | instid1(VALU_DEP_1)
	v_or_b32_e32 v8, 1, v8
	v_sub_nc_u64_e64 v[10:11], v[8:9], s[20:21]
	v_cmp_gt_u64_e32 vcc_lo, s[20:21], v[8:9]
	s_delay_alu instid0(VALU_DEP_2) | instskip(SKIP_3) | instid1(SALU_CYCLE_1)
	v_min_u64 v[8:9], v[8:9], v[10:11]
	s_and_b32 s13, vcc_lo, exec_lo
	s_cselect_b32 s15, s15, s17
	s_cselect_b32 s14, s14, s16
	s_or_b64 s[16:17], s[14:15], 0x800000000
	s_delay_alu instid0(VALU_DEP_1) | instskip(NEXT) | instid1(VALU_DEP_1)
	v_lshlrev_b64_e32 v[8:9], 1, v[8:9]
	v_or_b32_e32 v8, 1, v8
	s_delay_alu instid0(VALU_DEP_1) | instskip(SKIP_1) | instid1(VALU_DEP_2)
	v_sub_nc_u64_e64 v[10:11], v[8:9], s[20:21]
	v_cmp_gt_u64_e32 vcc_lo, s[20:21], v[8:9]
	v_min_u64 v[8:9], v[8:9], v[10:11]
	s_and_b32 s13, vcc_lo, exec_lo
	s_cselect_b32 s15, s15, s17
	s_cselect_b32 s14, s14, s16
	s_delay_alu instid0(SALU_CYCLE_1) | instskip(NEXT) | instid1(VALU_DEP_1)
	s_or_b64 s[16:17], s[14:15], 0x400000000
	v_lshlrev_b64_e32 v[8:9], 1, v[8:9]
	s_delay_alu instid0(VALU_DEP_1) | instskip(NEXT) | instid1(VALU_DEP_1)
	v_or_b32_e32 v8, 1, v8
	v_sub_nc_u64_e64 v[10:11], v[8:9], s[20:21]
	v_cmp_gt_u64_e32 vcc_lo, s[20:21], v[8:9]
	s_delay_alu instid0(VALU_DEP_2) | instskip(SKIP_3) | instid1(SALU_CYCLE_1)
	v_min_u64 v[8:9], v[8:9], v[10:11]
	s_and_b32 s13, vcc_lo, exec_lo
	s_cselect_b32 s15, s15, s17
	s_cselect_b32 s14, s14, s16
	s_or_b64 s[16:17], s[14:15], 0x200000000
	s_delay_alu instid0(VALU_DEP_1) | instskip(NEXT) | instid1(VALU_DEP_1)
	v_lshlrev_b64_e32 v[8:9], 1, v[8:9]
	v_or_b32_e32 v8, 1, v8
	s_delay_alu instid0(VALU_DEP_1) | instskip(SKIP_1) | instid1(VALU_DEP_2)
	v_sub_nc_u64_e64 v[10:11], v[8:9], s[20:21]
	v_cmp_gt_u64_e32 vcc_lo, s[20:21], v[8:9]
	v_min_u64 v[8:9], v[8:9], v[10:11]
	s_and_b32 s13, vcc_lo, exec_lo
	s_cselect_b32 s15, s15, s17
	s_cselect_b32 s14, s14, s16
	s_delay_alu instid0(SALU_CYCLE_1) | instskip(NEXT) | instid1(VALU_DEP_1)
	s_or_b64 s[16:17], s[14:15], 0x100000000
	v_lshlrev_b64_e32 v[8:9], 1, v[8:9]
	s_delay_alu instid0(VALU_DEP_1) | instskip(NEXT) | instid1(VALU_DEP_1)
	v_or_b32_e32 v8, 1, v8
	v_sub_nc_u64_e64 v[10:11], v[8:9], s[20:21]
	v_cmp_gt_u64_e32 vcc_lo, s[20:21], v[8:9]
	s_delay_alu instid0(VALU_DEP_2) | instskip(SKIP_3) | instid1(SALU_CYCLE_1)
	v_min_u64 v[8:9], v[8:9], v[10:11]
	s_and_b32 s13, vcc_lo, exec_lo
	s_cselect_b32 s15, s15, s17
	s_cselect_b32 s14, s14, s16
	s_or_b64 s[16:17], s[14:15], s[24:25]
	s_delay_alu instid0(VALU_DEP_1) | instskip(NEXT) | instid1(VALU_DEP_1)
	v_lshlrev_b64_e32 v[8:9], 1, v[8:9]
	v_or_b32_e32 v8, 1, v8
	s_delay_alu instid0(VALU_DEP_1) | instskip(SKIP_1) | instid1(VALU_DEP_2)
	v_sub_nc_u64_e64 v[10:11], v[8:9], s[20:21]
	v_cmp_gt_u64_e32 vcc_lo, s[20:21], v[8:9]
	v_min_u64 v[8:9], v[8:9], v[10:11]
	s_and_b32 s13, vcc_lo, exec_lo
	s_cselect_b32 s15, s15, s17
	s_cselect_b32 s14, s14, s16
	s_delay_alu instid0(SALU_CYCLE_1) | instskip(NEXT) | instid1(VALU_DEP_1)
	s_or_b64 s[16:17], s[14:15], 0x40000000
	v_lshlrev_b64_e32 v[8:9], 1, v[8:9]
	s_delay_alu instid0(VALU_DEP_1) | instskip(NEXT) | instid1(VALU_DEP_1)
	v_or_b32_e32 v8, 1, v8
	v_sub_nc_u64_e64 v[10:11], v[8:9], s[20:21]
	v_cmp_gt_u64_e32 vcc_lo, s[20:21], v[8:9]
	s_delay_alu instid0(VALU_DEP_2) | instskip(SKIP_3) | instid1(SALU_CYCLE_1)
	v_min_u64 v[8:9], v[8:9], v[10:11]
	s_and_b32 s13, vcc_lo, exec_lo
	s_cselect_b32 s15, s15, s17
	s_cselect_b32 s14, s14, s16
	s_or_b64 s[16:17], s[14:15], 0x20000000
	s_delay_alu instid0(VALU_DEP_1) | instskip(NEXT) | instid1(VALU_DEP_1)
	v_lshlrev_b64_e32 v[8:9], 1, v[8:9]
	v_or_b32_e32 v8, 1, v8
	s_delay_alu instid0(VALU_DEP_1) | instskip(SKIP_1) | instid1(VALU_DEP_2)
	v_sub_nc_u64_e64 v[10:11], v[8:9], s[20:21]
	v_cmp_gt_u64_e32 vcc_lo, s[20:21], v[8:9]
	v_min_u64 v[8:9], v[8:9], v[10:11]
	s_and_b32 s13, vcc_lo, exec_lo
	s_cselect_b32 s15, s15, s17
	s_cselect_b32 s14, s14, s16
	s_delay_alu instid0(SALU_CYCLE_1) | instskip(NEXT) | instid1(VALU_DEP_1)
	s_or_b64 s[16:17], s[14:15], 0x10000000
	v_lshlrev_b64_e32 v[8:9], 1, v[8:9]
	s_delay_alu instid0(VALU_DEP_1) | instskip(NEXT) | instid1(VALU_DEP_1)
	v_or_b32_e32 v8, 1, v8
	v_sub_nc_u64_e64 v[10:11], v[8:9], s[20:21]
	v_cmp_gt_u64_e32 vcc_lo, s[20:21], v[8:9]
	s_delay_alu instid0(VALU_DEP_2) | instskip(SKIP_3) | instid1(SALU_CYCLE_1)
	v_min_u64 v[8:9], v[8:9], v[10:11]
	s_and_b32 s13, vcc_lo, exec_lo
	s_cselect_b32 s15, s15, s17
	s_cselect_b32 s14, s14, s16
	s_or_b64 s[16:17], s[14:15], 0x8000000
	s_delay_alu instid0(VALU_DEP_1) | instskip(NEXT) | instid1(VALU_DEP_1)
	v_lshlrev_b64_e32 v[8:9], 1, v[8:9]
	v_or_b32_e32 v8, 1, v8
	s_delay_alu instid0(VALU_DEP_1) | instskip(SKIP_1) | instid1(VALU_DEP_2)
	v_sub_nc_u64_e64 v[10:11], v[8:9], s[20:21]
	v_cmp_gt_u64_e32 vcc_lo, s[20:21], v[8:9]
	v_min_u64 v[8:9], v[8:9], v[10:11]
	s_and_b32 s13, vcc_lo, exec_lo
	s_cselect_b32 s15, s15, s17
	s_cselect_b32 s14, s14, s16
	s_delay_alu instid0(SALU_CYCLE_1) | instskip(NEXT) | instid1(VALU_DEP_1)
	s_or_b64 s[16:17], s[14:15], 0x4000000
	v_lshlrev_b64_e32 v[8:9], 1, v[8:9]
	s_delay_alu instid0(VALU_DEP_1) | instskip(NEXT) | instid1(VALU_DEP_1)
	v_or_b32_e32 v8, 1, v8
	v_sub_nc_u64_e64 v[10:11], v[8:9], s[20:21]
	v_cmp_gt_u64_e32 vcc_lo, s[20:21], v[8:9]
	s_delay_alu instid0(VALU_DEP_2) | instskip(SKIP_3) | instid1(SALU_CYCLE_1)
	v_min_u64 v[8:9], v[8:9], v[10:11]
	s_and_b32 s13, vcc_lo, exec_lo
	s_cselect_b32 s15, s15, s17
	s_cselect_b32 s14, s14, s16
	s_or_b64 s[16:17], s[14:15], 0x2000000
	s_delay_alu instid0(VALU_DEP_1) | instskip(NEXT) | instid1(VALU_DEP_1)
	v_lshlrev_b64_e32 v[8:9], 1, v[8:9]
	v_or_b32_e32 v8, 1, v8
	s_delay_alu instid0(VALU_DEP_1) | instskip(SKIP_1) | instid1(VALU_DEP_2)
	v_sub_nc_u64_e64 v[10:11], v[8:9], s[20:21]
	v_cmp_gt_u64_e32 vcc_lo, s[20:21], v[8:9]
	v_min_u64 v[8:9], v[8:9], v[10:11]
	s_and_b32 s13, vcc_lo, exec_lo
	s_cselect_b32 s15, s15, s17
	s_cselect_b32 s14, s14, s16
	s_delay_alu instid0(SALU_CYCLE_1) | instskip(NEXT) | instid1(VALU_DEP_1)
	s_or_b64 s[16:17], s[14:15], 0x1000000
	v_lshlrev_b64_e32 v[8:9], 1, v[8:9]
	s_delay_alu instid0(VALU_DEP_1) | instskip(NEXT) | instid1(VALU_DEP_1)
	v_or_b32_e32 v8, 1, v8
	v_sub_nc_u64_e64 v[10:11], v[8:9], s[20:21]
	v_cmp_gt_u64_e32 vcc_lo, s[20:21], v[8:9]
	s_delay_alu instid0(VALU_DEP_2) | instskip(SKIP_3) | instid1(SALU_CYCLE_1)
	v_min_u64 v[8:9], v[8:9], v[10:11]
	s_and_b32 s13, vcc_lo, exec_lo
	s_cselect_b32 s15, s15, s17
	s_cselect_b32 s14, s14, s16
	s_or_b64 s[16:17], s[14:15], 0x800000
	s_delay_alu instid0(VALU_DEP_1) | instskip(NEXT) | instid1(VALU_DEP_1)
	v_lshlrev_b64_e32 v[8:9], 1, v[8:9]
	v_or_b32_e32 v8, 1, v8
	s_delay_alu instid0(VALU_DEP_1) | instskip(SKIP_1) | instid1(VALU_DEP_2)
	v_sub_nc_u64_e64 v[10:11], v[8:9], s[20:21]
	v_cmp_gt_u64_e32 vcc_lo, s[20:21], v[8:9]
	v_min_u64 v[8:9], v[8:9], v[10:11]
	s_and_b32 s13, vcc_lo, exec_lo
	s_cselect_b32 s15, s15, s17
	s_cselect_b32 s14, s14, s16
	s_delay_alu instid0(SALU_CYCLE_1) | instskip(NEXT) | instid1(VALU_DEP_1)
	s_or_b64 s[16:17], s[14:15], 0x400000
	v_lshlrev_b64_e32 v[8:9], 1, v[8:9]
	s_delay_alu instid0(VALU_DEP_1) | instskip(NEXT) | instid1(VALU_DEP_1)
	v_or_b32_e32 v8, 1, v8
	v_sub_nc_u64_e64 v[10:11], v[8:9], s[20:21]
	v_cmp_gt_u64_e32 vcc_lo, s[20:21], v[8:9]
	s_delay_alu instid0(VALU_DEP_2) | instskip(SKIP_3) | instid1(SALU_CYCLE_1)
	v_min_u64 v[8:9], v[8:9], v[10:11]
	s_and_b32 s13, vcc_lo, exec_lo
	s_cselect_b32 s15, s15, s17
	s_cselect_b32 s14, s14, s16
	s_or_b64 s[16:17], s[14:15], 0x200000
	s_delay_alu instid0(VALU_DEP_1) | instskip(NEXT) | instid1(VALU_DEP_1)
	v_lshlrev_b64_e32 v[8:9], 1, v[8:9]
	v_or_b32_e32 v8, 1, v8
	s_delay_alu instid0(VALU_DEP_1) | instskip(SKIP_1) | instid1(VALU_DEP_2)
	v_sub_nc_u64_e64 v[10:11], v[8:9], s[20:21]
	v_cmp_gt_u64_e32 vcc_lo, s[20:21], v[8:9]
	v_min_u64 v[8:9], v[8:9], v[10:11]
	s_and_b32 s13, vcc_lo, exec_lo
	s_cselect_b32 s15, s15, s17
	s_cselect_b32 s14, s14, s16
	s_delay_alu instid0(SALU_CYCLE_1) | instskip(NEXT) | instid1(VALU_DEP_1)
	s_or_b64 s[16:17], s[14:15], 0x100000
	v_lshlrev_b64_e32 v[8:9], 1, v[8:9]
	s_delay_alu instid0(VALU_DEP_1) | instskip(NEXT) | instid1(VALU_DEP_1)
	v_or_b32_e32 v8, 1, v8
	v_sub_nc_u64_e64 v[10:11], v[8:9], s[20:21]
	v_cmp_gt_u64_e32 vcc_lo, s[20:21], v[8:9]
	s_delay_alu instid0(VALU_DEP_2) | instskip(SKIP_3) | instid1(SALU_CYCLE_1)
	v_min_u64 v[8:9], v[8:9], v[10:11]
	s_and_b32 s13, vcc_lo, exec_lo
	s_cselect_b32 s15, s15, s17
	s_cselect_b32 s14, s14, s16
	s_or_b64 s[16:17], s[14:15], 0x80000
	s_delay_alu instid0(VALU_DEP_1) | instskip(NEXT) | instid1(VALU_DEP_1)
	v_lshlrev_b64_e32 v[8:9], 1, v[8:9]
	v_or_b32_e32 v8, 1, v8
	s_delay_alu instid0(VALU_DEP_1) | instskip(SKIP_1) | instid1(VALU_DEP_2)
	v_sub_nc_u64_e64 v[10:11], v[8:9], s[20:21]
	v_cmp_gt_u64_e32 vcc_lo, s[20:21], v[8:9]
	v_min_u64 v[8:9], v[8:9], v[10:11]
	s_and_b32 s13, vcc_lo, exec_lo
	s_cselect_b32 s15, s15, s17
	s_cselect_b32 s14, s14, s16
	s_delay_alu instid0(SALU_CYCLE_1) | instskip(NEXT) | instid1(VALU_DEP_1)
	s_or_b64 s[16:17], s[14:15], 0x40000
	v_lshlrev_b64_e32 v[8:9], 1, v[8:9]
	s_delay_alu instid0(VALU_DEP_1) | instskip(NEXT) | instid1(VALU_DEP_1)
	v_or_b32_e32 v8, 1, v8
	v_sub_nc_u64_e64 v[10:11], v[8:9], s[20:21]
	v_cmp_gt_u64_e32 vcc_lo, s[20:21], v[8:9]
	s_delay_alu instid0(VALU_DEP_2) | instskip(SKIP_3) | instid1(SALU_CYCLE_1)
	v_min_u64 v[8:9], v[8:9], v[10:11]
	s_and_b32 s13, vcc_lo, exec_lo
	s_cselect_b32 s15, s15, s17
	s_cselect_b32 s14, s14, s16
	s_or_b64 s[16:17], s[14:15], 0x20000
	s_delay_alu instid0(VALU_DEP_1) | instskip(NEXT) | instid1(VALU_DEP_1)
	v_lshlrev_b64_e32 v[8:9], 1, v[8:9]
	v_or_b32_e32 v8, 1, v8
	s_delay_alu instid0(VALU_DEP_1) | instskip(SKIP_1) | instid1(VALU_DEP_2)
	v_sub_nc_u64_e64 v[10:11], v[8:9], s[20:21]
	v_cmp_gt_u64_e32 vcc_lo, s[20:21], v[8:9]
	v_min_u64 v[8:9], v[8:9], v[10:11]
	s_and_b32 s13, vcc_lo, exec_lo
	s_cselect_b32 s15, s15, s17
	s_cselect_b32 s14, s14, s16
	s_delay_alu instid0(SALU_CYCLE_1) | instskip(NEXT) | instid1(VALU_DEP_1)
	s_or_b64 s[16:17], s[14:15], 0x10000
	v_lshlrev_b64_e32 v[8:9], 1, v[8:9]
	s_delay_alu instid0(VALU_DEP_1) | instskip(NEXT) | instid1(VALU_DEP_1)
	v_or_b32_e32 v8, 1, v8
	v_sub_nc_u64_e64 v[10:11], v[8:9], s[20:21]
	v_cmp_gt_u64_e32 vcc_lo, s[20:21], v[8:9]
	s_delay_alu instid0(VALU_DEP_2) | instskip(SKIP_3) | instid1(SALU_CYCLE_1)
	v_min_u64 v[8:9], v[8:9], v[10:11]
	s_and_b32 s13, vcc_lo, exec_lo
	s_cselect_b32 s15, s15, s17
	s_cselect_b32 s14, s14, s16
	s_or_b64 s[16:17], s[14:15], 0x8000
	s_delay_alu instid0(VALU_DEP_1) | instskip(NEXT) | instid1(VALU_DEP_1)
	v_lshlrev_b64_e32 v[8:9], 1, v[8:9]
	v_or_b32_e32 v8, 1, v8
	s_delay_alu instid0(VALU_DEP_1) | instskip(SKIP_1) | instid1(VALU_DEP_2)
	v_sub_nc_u64_e64 v[10:11], v[8:9], s[20:21]
	v_cmp_gt_u64_e32 vcc_lo, s[20:21], v[8:9]
	v_min_u64 v[8:9], v[8:9], v[10:11]
	s_and_b32 s13, vcc_lo, exec_lo
	s_cselect_b32 s15, s15, s17
	s_cselect_b32 s14, s14, s16
	s_delay_alu instid0(SALU_CYCLE_1) | instskip(NEXT) | instid1(VALU_DEP_1)
	s_or_b64 s[16:17], s[14:15], 0x4000
	v_lshlrev_b64_e32 v[8:9], 1, v[8:9]
	s_delay_alu instid0(VALU_DEP_1) | instskip(NEXT) | instid1(VALU_DEP_1)
	v_or_b32_e32 v8, 1, v8
	v_sub_nc_u64_e64 v[10:11], v[8:9], s[20:21]
	v_cmp_gt_u64_e32 vcc_lo, s[20:21], v[8:9]
	s_delay_alu instid0(VALU_DEP_2) | instskip(SKIP_3) | instid1(SALU_CYCLE_1)
	v_min_u64 v[8:9], v[8:9], v[10:11]
	s_and_b32 s13, vcc_lo, exec_lo
	s_cselect_b32 s15, s15, s17
	s_cselect_b32 s14, s14, s16
	s_or_b64 s[16:17], s[14:15], 0x2000
	s_delay_alu instid0(VALU_DEP_1) | instskip(NEXT) | instid1(VALU_DEP_1)
	v_lshlrev_b64_e32 v[8:9], 1, v[8:9]
	v_or_b32_e32 v8, 1, v8
	s_delay_alu instid0(VALU_DEP_1) | instskip(SKIP_1) | instid1(VALU_DEP_2)
	v_sub_nc_u64_e64 v[10:11], v[8:9], s[20:21]
	v_cmp_gt_u64_e32 vcc_lo, s[20:21], v[8:9]
	v_min_u64 v[8:9], v[8:9], v[10:11]
	s_and_b32 s13, vcc_lo, exec_lo
	s_cselect_b32 s15, s15, s17
	s_cselect_b32 s14, s14, s16
	s_delay_alu instid0(SALU_CYCLE_1) | instskip(NEXT) | instid1(VALU_DEP_1)
	s_or_b64 s[16:17], s[14:15], 0x1000
	v_lshlrev_b64_e32 v[8:9], 1, v[8:9]
	s_delay_alu instid0(VALU_DEP_1) | instskip(NEXT) | instid1(VALU_DEP_1)
	v_or_b32_e32 v8, 1, v8
	v_sub_nc_u64_e64 v[10:11], v[8:9], s[20:21]
	v_cmp_gt_u64_e32 vcc_lo, s[20:21], v[8:9]
	s_delay_alu instid0(VALU_DEP_2) | instskip(SKIP_3) | instid1(SALU_CYCLE_1)
	v_min_u64 v[8:9], v[8:9], v[10:11]
	s_and_b32 s13, vcc_lo, exec_lo
	s_cselect_b32 s15, s15, s17
	s_cselect_b32 s14, s14, s16
	s_or_b64 s[16:17], s[14:15], 0x800
	s_delay_alu instid0(VALU_DEP_1) | instskip(NEXT) | instid1(VALU_DEP_1)
	v_lshlrev_b64_e32 v[8:9], 1, v[8:9]
	v_or_b32_e32 v8, 1, v8
	s_delay_alu instid0(VALU_DEP_1) | instskip(SKIP_1) | instid1(VALU_DEP_2)
	v_sub_nc_u64_e64 v[10:11], v[8:9], s[20:21]
	v_cmp_gt_u64_e32 vcc_lo, s[20:21], v[8:9]
	v_min_u64 v[8:9], v[8:9], v[10:11]
	s_and_b32 s13, vcc_lo, exec_lo
	s_cselect_b32 s15, s15, s17
	s_cselect_b32 s14, s14, s16
	s_delay_alu instid0(SALU_CYCLE_1) | instskip(NEXT) | instid1(VALU_DEP_1)
	s_or_b64 s[16:17], s[14:15], 0x400
	v_lshlrev_b64_e32 v[8:9], 1, v[8:9]
	s_delay_alu instid0(VALU_DEP_1) | instskip(NEXT) | instid1(VALU_DEP_1)
	v_or_b32_e32 v8, 1, v8
	v_sub_nc_u64_e64 v[10:11], v[8:9], s[20:21]
	v_cmp_gt_u64_e32 vcc_lo, s[20:21], v[8:9]
	s_delay_alu instid0(VALU_DEP_2) | instskip(SKIP_3) | instid1(SALU_CYCLE_1)
	v_min_u64 v[8:9], v[8:9], v[10:11]
	s_and_b32 s13, vcc_lo, exec_lo
	s_cselect_b32 s15, s15, s17
	s_cselect_b32 s14, s14, s16
	s_or_b64 s[16:17], s[14:15], 0x200
	s_delay_alu instid0(VALU_DEP_1) | instskip(NEXT) | instid1(VALU_DEP_1)
	v_lshlrev_b64_e32 v[8:9], 1, v[8:9]
	v_or_b32_e32 v8, 1, v8
	s_delay_alu instid0(VALU_DEP_1) | instskip(SKIP_1) | instid1(VALU_DEP_2)
	v_sub_nc_u64_e64 v[10:11], v[8:9], s[20:21]
	v_cmp_gt_u64_e32 vcc_lo, s[20:21], v[8:9]
	v_min_u64 v[8:9], v[8:9], v[10:11]
	s_and_b32 s13, vcc_lo, exec_lo
	s_cselect_b32 s15, s15, s17
	s_cselect_b32 s14, s14, s16
	s_delay_alu instid0(SALU_CYCLE_1) | instskip(NEXT) | instid1(VALU_DEP_1)
	s_or_b64 s[16:17], s[14:15], 0x100
	v_lshlrev_b64_e32 v[8:9], 1, v[8:9]
	s_delay_alu instid0(VALU_DEP_1) | instskip(NEXT) | instid1(VALU_DEP_1)
	v_or_b32_e32 v8, 1, v8
	v_sub_nc_u64_e64 v[10:11], v[8:9], s[20:21]
	v_cmp_gt_u64_e32 vcc_lo, s[20:21], v[8:9]
	s_delay_alu instid0(VALU_DEP_2) | instskip(SKIP_3) | instid1(SALU_CYCLE_1)
	v_min_u64 v[8:9], v[8:9], v[10:11]
	s_and_b32 s13, vcc_lo, exec_lo
	s_cselect_b32 s15, s15, s17
	s_cselect_b32 s14, s14, s16
	s_or_b64 s[16:17], s[14:15], 0x80
	s_delay_alu instid0(VALU_DEP_1) | instskip(NEXT) | instid1(VALU_DEP_1)
	v_lshlrev_b64_e32 v[8:9], 1, v[8:9]
	v_or_b32_e32 v8, 1, v8
	s_delay_alu instid0(VALU_DEP_1) | instskip(SKIP_1) | instid1(VALU_DEP_2)
	v_sub_nc_u64_e64 v[10:11], v[8:9], s[20:21]
	v_cmp_gt_u64_e32 vcc_lo, s[20:21], v[8:9]
	v_min_u64 v[8:9], v[8:9], v[10:11]
	s_and_b32 s13, vcc_lo, exec_lo
	s_cselect_b32 s15, s15, s17
	s_cselect_b32 s14, s14, s16
	s_delay_alu instid0(SALU_CYCLE_1) | instskip(NEXT) | instid1(VALU_DEP_1)
	s_or_b64 s[16:17], s[14:15], 64
	v_lshlrev_b64_e32 v[8:9], 1, v[8:9]
	s_delay_alu instid0(VALU_DEP_1) | instskip(NEXT) | instid1(VALU_DEP_1)
	v_or_b32_e32 v8, 1, v8
	v_sub_nc_u64_e64 v[10:11], v[8:9], s[20:21]
	v_cmp_gt_u64_e32 vcc_lo, s[20:21], v[8:9]
	s_delay_alu instid0(VALU_DEP_2) | instskip(SKIP_3) | instid1(SALU_CYCLE_1)
	v_min_u64 v[8:9], v[8:9], v[10:11]
	s_and_b32 s13, vcc_lo, exec_lo
	s_cselect_b32 s15, s15, s17
	s_cselect_b32 s14, s14, s16
	s_or_b64 s[16:17], s[14:15], 32
	s_delay_alu instid0(VALU_DEP_1) | instskip(NEXT) | instid1(VALU_DEP_1)
	v_lshlrev_b64_e32 v[8:9], 1, v[8:9]
	v_or_b32_e32 v8, 1, v8
	s_delay_alu instid0(VALU_DEP_1) | instskip(SKIP_1) | instid1(VALU_DEP_2)
	v_sub_nc_u64_e64 v[10:11], v[8:9], s[20:21]
	v_cmp_gt_u64_e32 vcc_lo, s[20:21], v[8:9]
	v_min_u64 v[8:9], v[8:9], v[10:11]
	s_and_b32 s13, vcc_lo, exec_lo
	s_cselect_b32 s15, s15, s17
	s_cselect_b32 s14, s14, s16
	s_delay_alu instid0(SALU_CYCLE_1) | instskip(NEXT) | instid1(VALU_DEP_1)
	s_or_b64 s[16:17], s[14:15], 16
	v_lshlrev_b64_e32 v[8:9], 1, v[8:9]
	s_delay_alu instid0(VALU_DEP_1) | instskip(NEXT) | instid1(VALU_DEP_1)
	v_or_b32_e32 v8, 1, v8
	v_sub_nc_u64_e64 v[10:11], v[8:9], s[20:21]
	v_cmp_gt_u64_e32 vcc_lo, s[20:21], v[8:9]
	s_delay_alu instid0(VALU_DEP_2) | instskip(SKIP_3) | instid1(SALU_CYCLE_1)
	v_min_u64 v[8:9], v[8:9], v[10:11]
	s_and_b32 s13, vcc_lo, exec_lo
	s_cselect_b32 s15, s15, s17
	s_cselect_b32 s14, s14, s16
	s_or_b64 s[16:17], s[14:15], 8
	s_delay_alu instid0(VALU_DEP_1) | instskip(NEXT) | instid1(VALU_DEP_1)
	v_lshlrev_b64_e32 v[8:9], 1, v[8:9]
	v_or_b32_e32 v8, 1, v8
	s_delay_alu instid0(VALU_DEP_1) | instskip(SKIP_1) | instid1(VALU_DEP_2)
	v_sub_nc_u64_e64 v[10:11], v[8:9], s[20:21]
	v_cmp_gt_u64_e32 vcc_lo, s[20:21], v[8:9]
	v_min_u64 v[8:9], v[8:9], v[10:11]
	s_and_b32 s13, vcc_lo, exec_lo
	s_cselect_b32 s15, s15, s17
	s_cselect_b32 s14, s14, s16
	s_delay_alu instid0(SALU_CYCLE_1) | instskip(NEXT) | instid1(VALU_DEP_1)
	s_or_b64 s[16:17], s[14:15], 4
	v_lshlrev_b64_e32 v[8:9], 1, v[8:9]
	s_delay_alu instid0(VALU_DEP_1) | instskip(NEXT) | instid1(VALU_DEP_1)
	v_or_b32_e32 v8, 1, v8
	v_sub_nc_u64_e64 v[10:11], v[8:9], s[20:21]
	v_cmp_gt_u64_e32 vcc_lo, s[20:21], v[8:9]
	s_delay_alu instid0(VALU_DEP_2) | instskip(SKIP_3) | instid1(SALU_CYCLE_1)
	v_min_u64 v[8:9], v[8:9], v[10:11]
	s_and_b32 s13, vcc_lo, exec_lo
	s_cselect_b32 s15, s15, s17
	s_cselect_b32 s14, s14, s16
	s_or_b64 s[16:17], s[14:15], 2
	s_delay_alu instid0(VALU_DEP_1) | instskip(NEXT) | instid1(VALU_DEP_1)
	v_lshlrev_b64_e32 v[8:9], 1, v[8:9]
	v_or_b32_e32 v8, 1, v8
	s_delay_alu instid0(VALU_DEP_1) | instskip(SKIP_1) | instid1(VALU_DEP_2)
	v_sub_nc_u64_e64 v[10:11], v[8:9], s[20:21]
	v_cmp_gt_u64_e32 vcc_lo, s[20:21], v[8:9]
	v_min_u64 v[8:9], v[8:9], v[10:11]
	s_and_b32 s13, vcc_lo, exec_lo
	s_cselect_b32 s13, s15, s17
	s_cselect_b32 s14, s14, s16
	v_mov_b32_e32 v17, s13
	s_delay_alu instid0(VALU_DEP_2) | instskip(NEXT) | instid1(VALU_DEP_1)
	v_lshlrev_b64_e32 v[8:9], 1, v[8:9]
	v_or_b32_e32 v8, 1, v8
	s_delay_alu instid0(VALU_DEP_1) | instskip(SKIP_1) | instid1(VALU_DEP_1)
	v_cmp_le_u64_e32 vcc_lo, s[20:21], v[8:9]
	v_cndmask_b32_e64 v2, 0, 1, vcc_lo
	v_or_b32_e32 v16, s14, v2
.LBB4_640:                              ;   in Loop: Header=BB4_497 Depth=2
	v_ashrrev_i32_e32 v2, 31, v43
	s_mov_b32 s17, exec_lo
	s_delay_alu instid0(VALU_DEP_1) | instskip(NEXT) | instid1(VALU_DEP_1)
	v_lshrrev_b32_e32 v2, 22, v2
	v_add_nc_u32_e32 v2, v43, v2
	s_delay_alu instid0(VALU_DEP_1) | instskip(NEXT) | instid1(VALU_DEP_1)
	v_ashrrev_i32_e32 v79, 10, v2
	v_sub_nc_u32_e32 v78, v79, v110
	s_delay_alu instid0(VALU_DEP_1)
	v_cmpx_lt_i32_e32 0, v78
	s_cbranch_execz .LBB4_644
; %bb.641:                              ;   in Loop: Header=BB4_497 Depth=2
	s_trap 2
	ds_load_b64 v[8:9], v2
	v_add_nc_u64_e32 v[18:19], v[46:47], v[82:83]
	v_add_nc_u64_e32 v[22:23], v[56:57], v[82:83]
	v_dual_mov_b32 v58, v16 :: v_dual_mov_b32 v59, v113
	s_cmp_lt_i32 s75, 0
	s_mov_b32 s45, 0
	s_cselect_b32 s76, -1, 0
	s_wait_dscnt 0x0
	v_add_nc_u64_e32 v[20:21], v[8:9], v[82:83]
.LBB4_642:                              ;   Parent Loop BB4_47 Depth=1
                                        ;     Parent Loop BB4_497 Depth=2
                                        ; =>    This Inner Loop Header: Depth=3
	global_load_b128 v[60:63], v[20:21], off th:TH_LOAD_NT
	s_clause 0x1
	global_load_b128 v[72:75], v[18:19], off th:TH_LOAD_NT
	global_load_b128 v[8:11], v[18:19], off offset:512 th:TH_LOAD_NT
	global_load_b128 v[12:15], v[20:21], off offset:512 th:TH_LOAD_NT
	s_wait_xcnt 0x1
	v_add_nc_u64_e32 v[18:19], v[18:19], v[84:85]
	s_wait_xcnt 0x0
	v_add_nc_u64_e32 v[20:21], v[20:21], v[84:85]
	v_dual_mov_b32 v77, v113 :: v_dual_mov_b32 v91, v113
	v_dual_mov_b32 v93, s21 :: v_dual_mov_b32 v95, v113
	v_mov_b32_e32 v105, s21
	s_wait_loadcnt 0x2
	v_add_nc_u64_e32 v[60:61], v[60:61], v[72:73]
	v_add_nc_u64_e32 v[62:63], v[62:63], v[74:75]
	s_wait_loadcnt 0x0
	v_add_nc_u64_e32 v[8:9], v[12:13], v[8:9]
	v_add_nc_u64_e32 v[10:11], v[14:15], v[10:11]
	s_delay_alu instid0(VALU_DEP_4)
	v_cmp_gt_i64_e32 vcc_lo, 0, v[60:61]
	v_sub_nc_u64_e32 v[72:73], 0, v[60:61]
	v_cmp_gt_i64_e64 s13, 0, v[62:63]
	v_sub_nc_u64_e32 v[74:75], 0, v[62:63]
	v_cmp_gt_i64_e64 s14, 0, v[8:9]
	;; [unrolled: 2-line block ×3, first 2 shown]
	s_and_b32 vcc_lo, s76, vcc_lo
	v_sub_nc_u64_e32 v[14:15], 0, v[10:11]
	v_dual_cndmask_b32 v61, v61, v73 :: v_dual_cndmask_b32 v60, v60, v72
	s_and_b32 s13, s76, s13
	s_and_b32 s14, s76, s14
	v_dual_cndmask_b32 v63, v63, v75, s13 :: v_dual_cndmask_b32 v62, v62, v74, s13
	s_delay_alu instid0(VALU_DEP_2) | instskip(SKIP_2) | instid1(SALU_CYCLE_1)
	v_dual_mov_b32 v112, v60 :: v_dual_cndmask_b32 v9, v9, v13, s14
	v_cndmask_b32_e64 v8, v8, v12, s14
	s_and_b32 s15, s76, s15
	v_dual_sub_nc_u32 v78, v78, v52 :: v_dual_cndmask_b32 v15, v11, v15, s15
	s_delay_alu instid0(VALU_DEP_3) | instskip(NEXT) | instid1(VALU_DEP_1)
	v_mul_u64_e32 v[72:73], v[112:113], v[58:59]
	v_dual_cndmask_b32 v14, v10, v14, s15 :: v_dual_mov_b32 v112, v73
	s_delay_alu instid0(VALU_DEP_1) | instskip(NEXT) | instid1(VALU_DEP_1)
	v_mad_nc_u64_u32 v[72:73], v61, v16, v[112:113]
	v_dual_mov_b32 v112, v72 :: v_dual_mov_b32 v76, v73
	s_delay_alu instid0(VALU_DEP_1) | instskip(NEXT) | instid1(VALU_DEP_2)
	v_mad_nc_u64_u32 v[72:73], v60, v17, v[112:113]
	v_mad_nc_u64_u32 v[74:75], v61, v17, v[76:77]
	s_delay_alu instid0(VALU_DEP_2) | instskip(NEXT) | instid1(VALU_DEP_1)
	v_dual_mov_b32 v77, s21 :: v_dual_mov_b32 v112, v73
	v_add_nc_u64_e32 v[72:73], v[74:75], v[112:113]
	v_dual_mov_b32 v112, v62 :: v_dual_mov_b32 v75, s21
	s_delay_alu instid0(VALU_DEP_1) | instskip(NEXT) | instid1(VALU_DEP_1)
	v_mul_u64_e32 v[88:89], v[112:113], v[58:59]
	v_mov_b32_e32 v112, v89
	s_delay_alu instid0(VALU_DEP_1) | instskip(NEXT) | instid1(VALU_DEP_1)
	v_mad_nc_u64_u32 v[12:13], v63, v16, v[112:113]
	v_dual_mov_b32 v112, v12 :: v_dual_mov_b32 v90, v13
	s_delay_alu instid0(VALU_DEP_1) | instskip(NEXT) | instid1(VALU_DEP_2)
	v_mad_nc_u64_u32 v[12:13], v62, v17, v[112:113]
	v_mad_nc_u64_u32 v[88:89], v63, v17, v[90:91]
	s_delay_alu instid0(VALU_DEP_2) | instskip(NEXT) | instid1(VALU_DEP_1)
	v_mov_b32_e32 v112, v13
	v_add_nc_u64_e32 v[12:13], v[88:89], v[112:113]
	v_mov_b32_e32 v112, v8
	s_delay_alu instid0(VALU_DEP_1) | instskip(NEXT) | instid1(VALU_DEP_1)
	v_mul_u64_e32 v[88:89], v[112:113], v[58:59]
	v_mov_b32_e32 v112, v89
	s_delay_alu instid0(VALU_DEP_1) | instskip(NEXT) | instid1(VALU_DEP_1)
	v_mad_nc_u64_u32 v[88:89], v9, v16, v[112:113]
	v_dual_mov_b32 v112, v88 :: v_dual_mov_b32 v90, v89
	s_delay_alu instid0(VALU_DEP_1) | instskip(NEXT) | instid1(VALU_DEP_2)
	v_mad_nc_u64_u32 v[10:11], v8, v17, v[112:113]
	v_mad_nc_u64_u32 v[88:89], v9, v17, v[90:91]
	v_mul_u64_e32 v[90:91], s[20:21], v[72:73]
	s_delay_alu instid0(VALU_DEP_3) | instskip(NEXT) | instid1(VALU_DEP_1)
	v_mov_b32_e32 v112, v11
	v_add_nc_u64_e32 v[88:89], v[88:89], v[112:113]
	v_mov_b32_e32 v112, v14
	s_delay_alu instid0(VALU_DEP_1) | instskip(SKIP_2) | instid1(VALU_DEP_2)
	v_mul_u64_e32 v[10:11], v[112:113], v[58:59]
	v_sub_nc_u64_e32 v[60:61], v[60:61], v[90:91]
	v_mul_u64_e32 v[90:91], s[20:21], v[12:13]
	v_cmp_le_u64_e64 s16, s[20:21], v[60:61]
	s_delay_alu instid0(VALU_DEP_1) | instskip(SKIP_1) | instid1(VALU_DEP_1)
	v_cndmask_b32_e64 v74, 0, 1, s16
	v_mov_b32_e32 v112, v11
	v_mad_nc_u64_u32 v[10:11], v15, v16, v[112:113]
	v_sub_nc_u64_e32 v[62:63], v[62:63], v[90:91]
	s_delay_alu instid0(VALU_DEP_2) | instskip(NEXT) | instid1(VALU_DEP_1)
	v_dual_mov_b32 v112, v10 :: v_dual_mov_b32 v94, v11
	v_mad_nc_u64_u32 v[10:11], v14, v17, v[112:113]
	s_delay_alu instid0(VALU_DEP_2) | instskip(SKIP_1) | instid1(VALU_DEP_3)
	v_mad_nc_u64_u32 v[60:61], v15, v17, v[94:95]
	v_mul_u64_e32 v[94:95], s[20:21], v[88:89]
	v_mov_b32_e32 v112, v11
	v_add_nc_u64_e32 v[10:11], v[72:73], v[74:75]
	s_delay_alu instid0(VALU_DEP_2) | instskip(NEXT) | instid1(VALU_DEP_2)
	v_add_nc_u64_e32 v[60:61], v[60:61], v[112:113]
	v_sub_nc_u64_e32 v[72:73], 0, v[10:11]
	s_delay_alu instid0(VALU_DEP_2) | instskip(NEXT) | instid1(VALU_DEP_2)
	v_mul_u64_e32 v[106:107], s[20:21], v[60:61]
	v_dual_cndmask_b32 v11, v11, v73 :: v_dual_cndmask_b32 v10, v10, v72
	v_cmp_le_u64_e32 vcc_lo, s[20:21], v[62:63]
	v_sub_nc_u64_e32 v[8:9], v[8:9], v[94:95]
	v_cndmask_b32_e64 v76, 0, 1, vcc_lo
	s_delay_alu instid0(VALU_DEP_1) | instskip(NEXT) | instid1(VALU_DEP_3)
	v_add_nc_u64_e32 v[12:13], v[12:13], v[76:77]
	v_cmp_le_u64_e32 vcc_lo, s[20:21], v[8:9]
	v_cndmask_b32_e64 v92, 0, 1, vcc_lo
	s_delay_alu instid0(VALU_DEP_1) | instskip(SKIP_1) | instid1(VALU_DEP_2)
	v_add_nc_u64_e32 v[8:9], v[88:89], v[92:93]
	v_sub_nc_u64_e32 v[14:15], v[14:15], v[106:107]
	v_sub_nc_u64_e32 v[62:63], 0, v[8:9]
	s_delay_alu instid0(VALU_DEP_2) | instskip(SKIP_2) | instid1(VALU_DEP_2)
	v_cmp_le_u64_e32 vcc_lo, s[20:21], v[14:15]
	v_cndmask_b32_e64 v104, 0, 1, vcc_lo
	v_cmp_gt_i32_e32 vcc_lo, 1, v78
	v_add_nc_u64_e32 v[14:15], v[60:61], v[104:105]
	v_sub_nc_u64_e32 v[60:61], 0, v[12:13]
	s_or_b32 s45, vcc_lo, s45
	s_delay_alu instid0(VALU_DEP_2) | instskip(NEXT) | instid1(VALU_DEP_2)
	v_sub_nc_u64_e32 v[72:73], 0, v[14:15]
	v_dual_cndmask_b32 v13, v13, v61, s13 :: v_dual_cndmask_b32 v12, v12, v60, s13
	v_dual_cndmask_b32 v61, v9, v63, s14 :: v_dual_cndmask_b32 v60, v8, v62, s14
	s_delay_alu instid0(VALU_DEP_3)
	v_dual_cndmask_b32 v63, v15, v73, s15 :: v_dual_cndmask_b32 v62, v14, v72, s15
	s_clause 0x1
	global_store_b128 v[22:23], v[10:13], off th:TH_STORE_NT
	global_store_b128 v[22:23], v[60:63], off offset:512 th:TH_STORE_NT
	s_wait_xcnt 0x0
	v_add_nc_u64_e32 v[22:23], v[22:23], v[84:85]
	s_and_not1_b32 exec_lo, exec_lo, s45
	s_cbranch_execnz .LBB4_642
; %bb.643:                              ;   in Loop: Header=BB4_497 Depth=2
	s_or_b32 exec_lo, exec_lo, s45
.LBB4_644:                              ;   in Loop: Header=BB4_497 Depth=2
	s_delay_alu instid0(SALU_CYCLE_1) | instskip(SKIP_2) | instid1(VALU_DEP_1)
	s_or_b32 exec_lo, exec_lo, s17
	v_lshlrev_b32_e32 v20, 10, v79
	s_mov_b32 s45, exec_lo
                                        ; implicit-def: $vgpr18
                                        ; implicit-def: $vgpr2
                                        ; implicit-def: $vgpr19
	v_cmpx_ne_u32_e64 v43, v20
	s_cbranch_execz .LBB4_657
; %bb.645:                              ;   in Loop: Header=BB4_497 Depth=2
	v_mov_b64_e32 v[8:9], -1
	s_cmp_lt_i32 s20, 1
	s_cbranch_scc1 .LBB4_650
; %bb.646:                              ;   in Loop: Header=BB4_497 Depth=2
	s_cmp_lg_u32 s20, 1
	s_cbranch_scc1 .LBB4_648
; %bb.647:                              ;   in Loop: Header=BB4_497 Depth=2
	s_mov_b64 s[16:17], 0x8000000000000000
	s_mov_b64 s[14:15], 1
	s_branch .LBB4_649
.LBB4_648:                              ;   in Loop: Header=BB4_497 Depth=2
	s_mov_b64 s[14:15], 3
	s_mov_b64 s[16:17], 0
.LBB4_649:                              ;   in Loop: Header=BB4_497 Depth=2
	v_cmp_lt_u64_e64 s13, s[14:15], s[20:21]
	s_or_b64 s[76:77], s[16:17], 2.0
	s_mov_b32 s15, s21
	s_and_b32 s13, s13, exec_lo
	s_cselect_b32 s13, 0, s20
	s_cselect_b32 s17, s17, s77
	;; [unrolled: 1-line block ×3, first 2 shown]
	s_sub_co_i32 s13, s14, s13
	s_or_b64 s[76:77], s[16:17], 0x2000000000000000
	s_lshl_b32 s13, s13, 1
	s_delay_alu instid0(SALU_CYCLE_1) | instskip(NEXT) | instid1(SALU_CYCLE_1)
	s_or_b32 s14, s13, 1
	v_cmp_lt_u64_e64 s13, s[14:15], s[20:21]
	s_and_b32 s13, s13, exec_lo
	s_cselect_b32 s17, s17, s77
	s_cselect_b32 s16, s16, s76
	s_sub_nc_u64 s[76:77], s[14:15], s[20:21]
	s_delay_alu instid0(SALU_CYCLE_1) | instskip(SKIP_1) | instid1(VALU_DEP_1)
	v_min_u64 v[8:9], s[14:15], s[76:77]
	s_or_b64 s[14:15], s[16:17], 0x1000000000000000
	v_lshlrev_b64_e32 v[8:9], 1, v[8:9]
	s_delay_alu instid0(VALU_DEP_1) | instskip(NEXT) | instid1(VALU_DEP_1)
	v_or_b32_e32 v8, 1, v8
	v_sub_nc_u64_e64 v[10:11], v[8:9], s[20:21]
	v_cmp_gt_u64_e32 vcc_lo, s[20:21], v[8:9]
	s_delay_alu instid0(VALU_DEP_2) | instskip(SKIP_3) | instid1(SALU_CYCLE_1)
	v_min_u64 v[8:9], v[8:9], v[10:11]
	s_and_b32 s13, vcc_lo, exec_lo
	s_cselect_b32 s15, s17, s15
	s_cselect_b32 s14, s16, s14
	s_or_b64 s[16:17], s[14:15], 0x800000000000000
	s_delay_alu instid0(VALU_DEP_1) | instskip(NEXT) | instid1(VALU_DEP_1)
	v_lshlrev_b64_e32 v[8:9], 1, v[8:9]
	v_or_b32_e32 v8, 1, v8
	s_delay_alu instid0(VALU_DEP_1) | instskip(SKIP_1) | instid1(VALU_DEP_2)
	v_sub_nc_u64_e64 v[10:11], v[8:9], s[20:21]
	v_cmp_gt_u64_e32 vcc_lo, s[20:21], v[8:9]
	v_min_u64 v[8:9], v[8:9], v[10:11]
	s_and_b32 s13, vcc_lo, exec_lo
	s_cselect_b32 s15, s15, s17
	s_cselect_b32 s14, s14, s16
	s_delay_alu instid0(SALU_CYCLE_1) | instskip(NEXT) | instid1(VALU_DEP_1)
	s_or_b64 s[16:17], s[14:15], 0x400000000000000
	v_lshlrev_b64_e32 v[8:9], 1, v[8:9]
	s_delay_alu instid0(VALU_DEP_1) | instskip(NEXT) | instid1(VALU_DEP_1)
	v_or_b32_e32 v8, 1, v8
	v_sub_nc_u64_e64 v[10:11], v[8:9], s[20:21]
	v_cmp_gt_u64_e32 vcc_lo, s[20:21], v[8:9]
	s_delay_alu instid0(VALU_DEP_2) | instskip(SKIP_3) | instid1(SALU_CYCLE_1)
	v_min_u64 v[8:9], v[8:9], v[10:11]
	s_and_b32 s13, vcc_lo, exec_lo
	s_cselect_b32 s15, s15, s17
	s_cselect_b32 s14, s14, s16
	s_or_b64 s[16:17], s[14:15], 0x200000000000000
	s_delay_alu instid0(VALU_DEP_1) | instskip(NEXT) | instid1(VALU_DEP_1)
	v_lshlrev_b64_e32 v[8:9], 1, v[8:9]
	v_or_b32_e32 v8, 1, v8
	s_delay_alu instid0(VALU_DEP_1) | instskip(SKIP_1) | instid1(VALU_DEP_2)
	v_sub_nc_u64_e64 v[10:11], v[8:9], s[20:21]
	v_cmp_gt_u64_e32 vcc_lo, s[20:21], v[8:9]
	v_min_u64 v[8:9], v[8:9], v[10:11]
	s_and_b32 s13, vcc_lo, exec_lo
	s_cselect_b32 s15, s15, s17
	s_cselect_b32 s14, s14, s16
	s_delay_alu instid0(SALU_CYCLE_1) | instskip(NEXT) | instid1(VALU_DEP_1)
	;; [unrolled: 23-line block ×29, first 2 shown]
	s_or_b64 s[16:17], s[14:15], 4
	v_lshlrev_b64_e32 v[8:9], 1, v[8:9]
	s_delay_alu instid0(VALU_DEP_1) | instskip(NEXT) | instid1(VALU_DEP_1)
	v_or_b32_e32 v8, 1, v8
	v_sub_nc_u64_e64 v[10:11], v[8:9], s[20:21]
	v_cmp_gt_u64_e32 vcc_lo, s[20:21], v[8:9]
	s_delay_alu instid0(VALU_DEP_2) | instskip(SKIP_3) | instid1(SALU_CYCLE_1)
	v_min_u64 v[8:9], v[8:9], v[10:11]
	s_and_b32 s13, vcc_lo, exec_lo
	s_cselect_b32 s15, s15, s17
	s_cselect_b32 s14, s14, s16
	s_or_b64 s[16:17], s[14:15], 2
	s_delay_alu instid0(VALU_DEP_1) | instskip(NEXT) | instid1(VALU_DEP_1)
	v_lshlrev_b64_e32 v[8:9], 1, v[8:9]
	v_or_b32_e32 v8, 1, v8
	s_delay_alu instid0(VALU_DEP_1) | instskip(SKIP_1) | instid1(VALU_DEP_2)
	v_sub_nc_u64_e64 v[10:11], v[8:9], s[20:21]
	v_cmp_gt_u64_e32 vcc_lo, s[20:21], v[8:9]
	v_min_u64 v[8:9], v[8:9], v[10:11]
	s_and_b32 s13, vcc_lo, exec_lo
	s_cselect_b32 s13, s15, s17
	s_cselect_b32 s14, s14, s16
	s_delay_alu instid0(VALU_DEP_1) | instskip(NEXT) | instid1(VALU_DEP_1)
	v_lshlrev_b64_e32 v[8:9], 1, v[8:9]
	v_or_b32_e32 v8, 1, v8
	s_delay_alu instid0(VALU_DEP_1) | instskip(SKIP_2) | instid1(VALU_DEP_1)
	v_cmp_le_u64_e32 vcc_lo, s[20:21], v[8:9]
	v_mov_b32_e32 v9, s13
	v_cndmask_b32_e64 v2, 0, 1, vcc_lo
	v_or_b32_e32 v8, s14, v2
.LBB4_650:                              ;   in Loop: Header=BB4_497 Depth=2
	v_dual_lshlrev_b32 v2, 5, v78 :: v_dual_sub_nc_u32 v10, v43, v20
	s_mov_b32 s16, exec_lo
	s_delay_alu instid0(VALU_DEP_1) | instskip(NEXT) | instid1(VALU_DEP_2)
	v_sub_nc_u32_e32 v2, v109, v2
	v_ashrrev_i32_e32 v11, 31, v10
	s_delay_alu instid0(VALU_DEP_1) | instskip(NEXT) | instid1(VALU_DEP_1)
	v_dual_ashrrev_i32 v3, 31, v2 :: v_dual_lshrrev_b32 v11, 23, v11
	v_lshrrev_b32_e32 v3, 27, v3
	s_delay_alu instid0(VALU_DEP_1) | instskip(NEXT) | instid1(VALU_DEP_1)
	v_add_nc_u32_e32 v3, v2, v3
	v_and_b32_e32 v12, 0xffffffe0, v3
	s_delay_alu instid0(VALU_DEP_1) | instskip(NEXT) | instid1(VALU_DEP_1)
	v_dual_ashrrev_i32 v3, 5, v3 :: v_dual_sub_nc_u32 v22, v2, v12
	v_dual_add_nc_u32 v11, v10, v11 :: v_dual_lshlrev_b32 v2, 4, v22
	s_delay_alu instid0(VALU_DEP_1) | instskip(SKIP_1) | instid1(VALU_DEP_3)
	v_and_b32_e32 v21, 0xfffffe00, v11
	v_ashrrev_i32_e32 v11, 9, v11
	v_lshl_add_u32 v2, v3, 9, v2
	s_delay_alu instid0(VALU_DEP_3) | instskip(NEXT) | instid1(VALU_DEP_1)
	v_sub_nc_u32_e32 v23, v10, v21
	v_cmp_lt_i32_e32 vcc_lo, 15, v23
	s_delay_alu instid0(VALU_DEP_4) | instskip(NEXT) | instid1(VALU_DEP_1)
	v_add_co_ci_u32_e64 v11, null, 0, v11, vcc_lo
	v_dual_sub_nc_u32 v18, v10, v2 :: v_dual_sub_nc_u32 v58, v11, v3
	s_delay_alu instid0(VALU_DEP_1)
	v_cmpx_lt_i32_e32 15, v18
	s_cbranch_execz .LBB4_654
; %bb.651:                              ;   in Loop: Header=BB4_497 Depth=2
	s_trap 2
	ds_load_b64 v[12:13], v2
	v_dual_add_nc_u32 v14, v2, v20 :: v_dual_mov_b32 v16, v8
	s_cmp_lt_i32 s75, 0
	v_mov_b32_e32 v17, v113
	s_mov_b32 s17, 0
	s_delay_alu instid0(VALU_DEP_2) | instskip(SKIP_1) | instid1(VALU_DEP_1)
	v_ashrrev_i32_e32 v15, 31, v14
	s_cselect_b32 s76, -1, 0
	v_add_nc_u64_e32 v[10:11], v[14:15], v[46:47]
	s_wait_dscnt 0x0
	v_add_nc_u64_e32 v[12:13], v[12:13], v[14:15]
	v_add_nc_u64_e32 v[14:15], v[14:15], v[56:57]
.LBB4_652:                              ;   Parent Loop BB4_47 Depth=1
                                        ;     Parent Loop BB4_497 Depth=2
                                        ; =>    This Inner Loop Header: Depth=3
	global_load_b128 v[60:63], v[10:11], off th:TH_LOAD_NT
	global_load_b128 v[72:75], v[12:13], off th:TH_LOAD_NT
	s_wait_xcnt 0x1
	v_add_nc_u64_e32 v[10:11], v[10:11], v[70:71]
	s_wait_xcnt 0x0
	v_add_nc_u64_e32 v[12:13], v[12:13], v[70:71]
	v_dual_mov_b32 v77, v113 :: v_dual_sub_nc_u32 v58, v58, v52
	v_mov_b32_e32 v89, s21
	s_wait_loadcnt 0x0
	v_add_nc_u64_e32 v[60:61], v[72:73], v[60:61]
	v_add_nc_u64_e32 v[62:63], v[74:75], v[62:63]
	s_delay_alu instid0(VALU_DEP_2) | instskip(SKIP_1) | instid1(VALU_DEP_3)
	v_cmp_gt_i64_e64 s13, 0, v[60:61]
	v_sub_nc_u64_e32 v[72:73], 0, v[60:61]
	v_cmp_gt_i64_e64 s14, 0, v[62:63]
	v_sub_nc_u64_e32 v[74:75], 0, v[62:63]
	s_and_b32 s13, s76, s13
	s_delay_alu instid0(SALU_CYCLE_1)
	v_dual_cndmask_b32 v61, v61, v73, s13 :: v_dual_cndmask_b32 v60, v60, v72, s13
	s_and_b32 s14, s76, s14
	s_delay_alu instid0(VALU_DEP_1) | instid1(SALU_CYCLE_1)
	v_dual_cndmask_b32 v63, v63, v75, s14 :: v_dual_mov_b32 v112, v60
	s_delay_alu instid0(VALU_DEP_1) | instskip(NEXT) | instid1(VALU_DEP_1)
	v_mul_u64_e32 v[72:73], v[112:113], v[16:17]
	v_mov_b32_e32 v112, v73
	s_delay_alu instid0(VALU_DEP_1) | instskip(NEXT) | instid1(VALU_DEP_1)
	v_mad_nc_u64_u32 v[72:73], v61, v8, v[112:113]
	v_dual_mov_b32 v112, v72 :: v_dual_mov_b32 v76, v73
	s_delay_alu instid0(VALU_DEP_1) | instskip(NEXT) | instid1(VALU_DEP_2)
	v_mad_nc_u64_u32 v[72:73], v60, v9, v[112:113]
	v_mad_nc_u64_u32 v[76:77], v61, v9, v[76:77]
	s_delay_alu instid0(VALU_DEP_2) | instskip(NEXT) | instid1(VALU_DEP_1)
	v_dual_cndmask_b32 v62, v62, v74, s14 :: v_dual_mov_b32 v112, v73
	v_add_nc_u64_e32 v[72:73], v[76:77], v[112:113]
	s_delay_alu instid0(VALU_DEP_2) | instskip(NEXT) | instid1(VALU_DEP_1)
	v_dual_mov_b32 v112, v62 :: v_dual_mov_b32 v77, v113
	v_mul_u64_e32 v[74:75], v[112:113], v[16:17]
	s_delay_alu instid0(VALU_DEP_1) | instskip(NEXT) | instid1(VALU_DEP_1)
	v_mov_b32_e32 v112, v75
	v_mad_nc_u64_u32 v[74:75], v63, v8, v[112:113]
	s_delay_alu instid0(VALU_DEP_1) | instskip(NEXT) | instid1(VALU_DEP_1)
	v_dual_mov_b32 v112, v74 :: v_dual_mov_b32 v76, v75
	v_mad_nc_u64_u32 v[74:75], v62, v9, v[112:113]
	s_delay_alu instid0(VALU_DEP_2) | instskip(NEXT) | instid1(VALU_DEP_2)
	v_mad_nc_u64_u32 v[76:77], v63, v9, v[76:77]
	v_mov_b32_e32 v112, v75
	s_delay_alu instid0(VALU_DEP_1) | instskip(SKIP_1) | instid1(VALU_DEP_2)
	v_add_nc_u64_e32 v[74:75], v[76:77], v[112:113]
	v_mul_u64_e32 v[76:77], s[20:21], v[72:73]
	v_mul_u64_e32 v[78:79], s[20:21], v[74:75]
	s_delay_alu instid0(VALU_DEP_2) | instskip(SKIP_1) | instid1(VALU_DEP_3)
	v_sub_nc_u64_e32 v[60:61], v[60:61], v[76:77]
	v_mov_b32_e32 v77, s21
	v_sub_nc_u64_e32 v[62:63], v[62:63], v[78:79]
	s_delay_alu instid0(VALU_DEP_3) | instskip(NEXT) | instid1(VALU_DEP_1)
	v_cmp_le_u64_e64 s15, s[20:21], v[60:61]
	v_cndmask_b32_e64 v88, 0, 1, s15
	s_delay_alu instid0(VALU_DEP_3) | instskip(NEXT) | instid1(VALU_DEP_2)
	v_cmp_le_u64_e64 s15, s[20:21], v[62:63]
	v_add_nc_u64_e32 v[60:61], v[72:73], v[88:89]
	s_delay_alu instid0(VALU_DEP_2) | instskip(NEXT) | instid1(VALU_DEP_2)
	v_cndmask_b32_e64 v76, 0, 1, s15
	v_sub_nc_u64_e32 v[72:73], 0, v[60:61]
	s_delay_alu instid0(VALU_DEP_2) | instskip(NEXT) | instid1(VALU_DEP_2)
	v_add_nc_u64_e32 v[62:63], v[74:75], v[76:77]
	v_dual_sub_nc_u32 v18, v18, v70 :: v_dual_cndmask_b32 v61, v61, v73, s13
	s_delay_alu instid0(VALU_DEP_2) | instskip(NEXT) | instid1(VALU_DEP_4)
	v_sub_nc_u64_e32 v[74:75], 0, v[62:63]
	v_cndmask_b32_e64 v60, v60, v72, s13
	s_delay_alu instid0(VALU_DEP_3) | instskip(NEXT) | instid1(VALU_DEP_3)
	v_cmp_gt_i32_e64 s13, 16, v18
	v_dual_cndmask_b32 v63, v63, v75, s14 :: v_dual_cndmask_b32 v62, v62, v74, s14
	s_or_b32 s17, s13, s17
	global_store_b128 v[14:15], v[60:63], off th:TH_STORE_NT
	s_wait_xcnt 0x0
	v_add_nc_u64_e32 v[14:15], v[14:15], v[70:71]
	s_and_not1_b32 exec_lo, exec_lo, s17
	s_cbranch_execnz .LBB4_652
; %bb.653:                              ;   in Loop: Header=BB4_497 Depth=2
	s_or_b32 exec_lo, exec_lo, s17
.LBB4_654:                              ;   in Loop: Header=BB4_497 Depth=2
	s_delay_alu instid0(SALU_CYCLE_1) | instskip(SKIP_3) | instid1(VALU_DEP_1)
	s_or_b32 exec_lo, exec_lo, s16
	v_and_b32_e32 v8, 8, v43
	s_mov_b32 s15, s44
	s_mov_b32 s14, exec_lo
                                        ; implicit-def: $vgpr18
                                        ; implicit-def: $vgpr2
                                        ; implicit-def: $vgpr19
	v_cndmask_b32_e32 v43, v23, v8, vcc_lo
	s_delay_alu instid0(VALU_DEP_1)
	v_cmpx_ne_u32_e32 0, v43
	s_cbranch_execz .LBB4_656
; %bb.655:                              ;   in Loop: Header=BB4_497 Depth=2
	v_cmp_lt_i32_e64 s13, 0, v58
	s_or_b32 s15, s44, exec_lo
	v_sub_nc_u32_e32 v8, v23, v8
	v_cndmask_b32_e64 v2, 0, v52, s13
	s_delay_alu instid0(VALU_DEP_1) | instskip(NEXT) | instid1(VALU_DEP_1)
	v_dual_cndmask_b32 v8, 0, v8, vcc_lo :: v_dual_sub_nc_u32 v2, v2, v58
	v_add3_u32 v18, v21, v20, v8
	s_delay_alu instid0(VALU_DEP_2) | instskip(NEXT) | instid1(VALU_DEP_1)
	v_lshl_add_u32 v2, v2, 5, v22
	v_ashrrev_i32_e32 v3, 31, v2
	s_delay_alu instid0(VALU_DEP_1) | instskip(NEXT) | instid1(VALU_DEP_1)
	v_lshrrev_b32_e32 v3, 27, v3
	v_add_nc_u32_e32 v3, v2, v3
	s_delay_alu instid0(VALU_DEP_1) | instskip(NEXT) | instid1(VALU_DEP_1)
	v_and_b32_e32 v3, 0xffffffe0, v3
	v_sub_nc_u32_e32 v19, v2, v3
.LBB4_656:                              ;   in Loop: Header=BB4_497 Depth=2
	s_or_b32 exec_lo, exec_lo, s14
	s_delay_alu instid0(SALU_CYCLE_1) | instskip(SKIP_1) | instid1(SALU_CYCLE_1)
	s_and_not1_b32 s13, s44, exec_lo
	s_and_b32 s14, s15, exec_lo
	s_or_b32 s44, s13, s14
.LBB4_657:                              ;   in Loop: Header=BB4_497 Depth=2
	s_or_b32 exec_lo, exec_lo, s45
	s_mov_b64 s[16:17], s[20:21]
	s_and_saveexec_b32 s76, s44
	s_cbranch_execz .LBB4_676
.LBB4_658:                              ;   in Loop: Header=BB4_497 Depth=2
	v_mov_b64_e32 v[8:9], -1
	s_cmp_lt_i32 s20, 1
	s_cbranch_scc1 .LBB4_663
; %bb.659:                              ;   in Loop: Header=BB4_497 Depth=2
	s_cmp_lg_u32 s20, 1
	s_cbranch_scc1 .LBB4_661
; %bb.660:                              ;   in Loop: Header=BB4_497 Depth=2
	s_mov_b64 s[44:45], 0x8000000000000000
	s_mov_b64 s[14:15], 1
	s_branch .LBB4_662
.LBB4_661:                              ;   in Loop: Header=BB4_497 Depth=2
	s_mov_b64 s[14:15], 3
	s_mov_b64 s[44:45], 0
.LBB4_662:                              ;   in Loop: Header=BB4_497 Depth=2
	v_cmp_lt_u64_e64 s13, s[14:15], s[16:17]
	s_or_b64 s[78:79], s[44:45], 2.0
	s_mov_b32 s15, s21
	s_and_b32 s13, s13, exec_lo
	s_cselect_b32 s13, 0, s16
	s_cselect_b32 s45, s45, s79
	;; [unrolled: 1-line block ×3, first 2 shown]
	s_sub_co_i32 s13, s14, s13
	s_or_b64 s[78:79], s[44:45], 0x2000000000000000
	s_lshl_b32 s13, s13, 1
	s_delay_alu instid0(SALU_CYCLE_1) | instskip(NEXT) | instid1(SALU_CYCLE_1)
	s_or_b32 s14, s13, 1
	v_cmp_lt_u64_e64 s13, s[14:15], s[16:17]
	s_and_b32 s13, s13, exec_lo
	s_cselect_b32 s45, s45, s79
	s_cselect_b32 s44, s44, s78
	s_sub_nc_u64 s[78:79], s[14:15], s[16:17]
	s_delay_alu instid0(SALU_CYCLE_1) | instskip(SKIP_1) | instid1(VALU_DEP_1)
	v_min_u64 v[8:9], s[14:15], s[78:79]
	s_or_b64 s[14:15], s[44:45], 0x1000000000000000
	v_lshlrev_b64_e32 v[8:9], 1, v[8:9]
	s_delay_alu instid0(VALU_DEP_1) | instskip(NEXT) | instid1(VALU_DEP_1)
	v_or_b32_e32 v8, 1, v8
	v_sub_nc_u64_e64 v[10:11], v[8:9], s[16:17]
	v_cmp_gt_u64_e32 vcc_lo, s[16:17], v[8:9]
	s_delay_alu instid0(VALU_DEP_2) | instskip(SKIP_3) | instid1(SALU_CYCLE_1)
	v_min_u64 v[8:9], v[8:9], v[10:11]
	s_and_b32 s13, vcc_lo, exec_lo
	s_cselect_b32 s15, s45, s15
	s_cselect_b32 s14, s44, s14
	s_or_b64 s[44:45], s[14:15], 0x800000000000000
	s_delay_alu instid0(VALU_DEP_1) | instskip(NEXT) | instid1(VALU_DEP_1)
	v_lshlrev_b64_e32 v[8:9], 1, v[8:9]
	v_or_b32_e32 v8, 1, v8
	s_delay_alu instid0(VALU_DEP_1) | instskip(SKIP_1) | instid1(VALU_DEP_2)
	v_sub_nc_u64_e64 v[10:11], v[8:9], s[16:17]
	v_cmp_gt_u64_e32 vcc_lo, s[16:17], v[8:9]
	v_min_u64 v[8:9], v[8:9], v[10:11]
	s_and_b32 s13, vcc_lo, exec_lo
	s_cselect_b32 s15, s15, s45
	s_cselect_b32 s14, s14, s44
	s_delay_alu instid0(SALU_CYCLE_1) | instskip(NEXT) | instid1(VALU_DEP_1)
	s_or_b64 s[44:45], s[14:15], 0x400000000000000
	v_lshlrev_b64_e32 v[8:9], 1, v[8:9]
	s_delay_alu instid0(VALU_DEP_1) | instskip(NEXT) | instid1(VALU_DEP_1)
	v_or_b32_e32 v8, 1, v8
	v_sub_nc_u64_e64 v[10:11], v[8:9], s[16:17]
	v_cmp_gt_u64_e32 vcc_lo, s[16:17], v[8:9]
	s_delay_alu instid0(VALU_DEP_2) | instskip(SKIP_3) | instid1(SALU_CYCLE_1)
	v_min_u64 v[8:9], v[8:9], v[10:11]
	s_and_b32 s13, vcc_lo, exec_lo
	s_cselect_b32 s15, s15, s45
	s_cselect_b32 s14, s14, s44
	s_or_b64 s[44:45], s[14:15], 0x200000000000000
	s_delay_alu instid0(VALU_DEP_1) | instskip(NEXT) | instid1(VALU_DEP_1)
	v_lshlrev_b64_e32 v[8:9], 1, v[8:9]
	v_or_b32_e32 v8, 1, v8
	s_delay_alu instid0(VALU_DEP_1) | instskip(SKIP_1) | instid1(VALU_DEP_2)
	v_sub_nc_u64_e64 v[10:11], v[8:9], s[16:17]
	v_cmp_gt_u64_e32 vcc_lo, s[16:17], v[8:9]
	v_min_u64 v[8:9], v[8:9], v[10:11]
	s_and_b32 s13, vcc_lo, exec_lo
	s_cselect_b32 s15, s15, s45
	s_cselect_b32 s14, s14, s44
	s_delay_alu instid0(SALU_CYCLE_1) | instskip(NEXT) | instid1(VALU_DEP_1)
	;; [unrolled: 23-line block ×29, first 2 shown]
	s_or_b64 s[44:45], s[14:15], 4
	v_lshlrev_b64_e32 v[8:9], 1, v[8:9]
	s_delay_alu instid0(VALU_DEP_1) | instskip(NEXT) | instid1(VALU_DEP_1)
	v_or_b32_e32 v8, 1, v8
	v_sub_nc_u64_e64 v[10:11], v[8:9], s[16:17]
	v_cmp_gt_u64_e32 vcc_lo, s[16:17], v[8:9]
	s_delay_alu instid0(VALU_DEP_2) | instskip(SKIP_3) | instid1(SALU_CYCLE_1)
	v_min_u64 v[8:9], v[8:9], v[10:11]
	s_and_b32 s13, vcc_lo, exec_lo
	s_cselect_b32 s15, s15, s45
	s_cselect_b32 s14, s14, s44
	s_or_b64 s[44:45], s[14:15], 2
	s_delay_alu instid0(VALU_DEP_1) | instskip(NEXT) | instid1(VALU_DEP_1)
	v_lshlrev_b64_e32 v[8:9], 1, v[8:9]
	v_or_b32_e32 v8, 1, v8
	s_delay_alu instid0(VALU_DEP_1) | instskip(SKIP_1) | instid1(VALU_DEP_2)
	v_sub_nc_u64_e64 v[10:11], v[8:9], s[16:17]
	v_cmp_gt_u64_e32 vcc_lo, s[16:17], v[8:9]
	v_min_u64 v[8:9], v[8:9], v[10:11]
	s_and_b32 s13, vcc_lo, exec_lo
	s_cselect_b32 s13, s15, s45
	s_cselect_b32 s14, s14, s44
	s_delay_alu instid0(VALU_DEP_1) | instskip(NEXT) | instid1(VALU_DEP_1)
	v_lshlrev_b64_e32 v[8:9], 1, v[8:9]
	v_or_b32_e32 v8, 1, v8
	s_delay_alu instid0(VALU_DEP_1) | instskip(SKIP_2) | instid1(VALU_DEP_1)
	v_cmp_le_u64_e32 vcc_lo, s[16:17], v[8:9]
	v_mov_b32_e32 v9, s13
	v_cndmask_b32_e64 v8, 0, 1, vcc_lo
	v_or_b32_e32 v8, s14, v8
.LBB4_663:                              ;   in Loop: Header=BB4_497 Depth=2
	v_dual_ashrrev_i32 v3, 31, v2 :: v_dual_ashrrev_i32 v10, 31, v43
	s_mov_b32 s15, exec_lo
	s_delay_alu instid0(VALU_DEP_1) | instskip(NEXT) | instid1(VALU_DEP_1)
	v_dual_lshrrev_b32 v3, 27, v3 :: v_dual_lshrrev_b32 v10, 23, v10
	v_dual_add_nc_u32 v2, v2, v3 :: v_dual_add_nc_u32 v3, v43, v10
	s_delay_alu instid0(VALU_DEP_1) | instskip(NEXT) | instid1(VALU_DEP_1)
	v_dual_ashrrev_i32 v2, 5, v2 :: v_dual_ashrrev_i32 v21, 9, v3
	v_sub_nc_u32_e32 v20, v21, v2
	s_delay_alu instid0(VALU_DEP_1)
	v_cmpx_lt_i32_e32 0, v20
	s_cbranch_execz .LBB4_667
; %bb.664:                              ;   in Loop: Header=BB4_497 Depth=2
	s_trap 2
	ds_load_b64 v[12:13], v2
	v_dual_lshlrev_b32 v2, 9, v2 :: v_dual_lshlrev_b32 v3, 3, v19
	v_mov_b32_e32 v17, v113
	s_cmp_lt_i32 s75, 0
	s_mov_b32 s44, 0
	s_cselect_b32 s45, -1, 0
	v_add3_u32 v14, v18, v3, v2
	s_delay_alu instid0(VALU_DEP_1) | instskip(NEXT) | instid1(VALU_DEP_1)
	v_dual_mov_b32 v16, v8 :: v_dual_ashrrev_i32 v15, 31, v14
	v_add_nc_u64_e32 v[10:11], v[14:15], v[46:47]
	s_wait_dscnt 0x0
	v_add_nc_u64_e32 v[12:13], v[12:13], v[14:15]
	v_add_nc_u64_e32 v[14:15], v[14:15], v[56:57]
.LBB4_665:                              ;   Parent Loop BB4_47 Depth=1
                                        ;     Parent Loop BB4_497 Depth=2
                                        ; =>    This Inner Loop Header: Depth=3
	flat_load_b64 v[22:23], v[12:13] th:TH_LOAD_NT
	s_clause 0x1
	flat_load_b64 v[58:59], v[10:11] th:TH_LOAD_NT
	flat_load_b64 v[60:61], v[10:11] offset:256 th:TH_LOAD_NT
	flat_load_b64 v[62:63], v[12:13] offset:256 th:TH_LOAD_NT
	s_wait_xcnt 0x1
	v_add_nc_u64_e32 v[10:11], v[10:11], v[70:71]
	s_wait_xcnt 0x0
	v_add_nc_u64_e32 v[12:13], v[12:13], v[70:71]
	v_dual_mov_b32 v73, v113 :: v_dual_mov_b32 v77, s21
	s_wait_loadcnt_dscnt 0x202
	v_add_nc_u64_e32 v[22:23], v[22:23], v[58:59]
	s_wait_loadcnt_dscnt 0x0
	v_add_nc_u64_e32 v[60:61], v[62:63], v[60:61]
	s_delay_alu instid0(VALU_DEP_2) | instskip(SKIP_1) | instid1(VALU_DEP_3)
	v_cmp_gt_i64_e32 vcc_lo, 0, v[22:23]
	v_sub_nc_u64_e32 v[58:59], 0, v[22:23]
	v_cmp_gt_i64_e64 s13, 0, v[60:61]
	v_sub_nc_u64_e32 v[62:63], 0, v[60:61]
	s_and_b32 vcc_lo, s45, vcc_lo
	v_dual_cndmask_b32 v23, v23, v59 :: v_dual_cndmask_b32 v22, v22, v58
	s_and_b32 s13, s45, s13
	s_delay_alu instid0(VALU_DEP_1) | instid1(SALU_CYCLE_1)
	v_dual_cndmask_b32 v61, v61, v63, s13 :: v_dual_mov_b32 v112, v22
	s_delay_alu instid0(VALU_DEP_1) | instskip(NEXT) | instid1(VALU_DEP_1)
	v_mul_u64_e32 v[58:59], v[112:113], v[16:17]
	v_mov_b32_e32 v112, v59
	s_delay_alu instid0(VALU_DEP_1) | instskip(NEXT) | instid1(VALU_DEP_1)
	v_mad_nc_u64_u32 v[58:59], v23, v8, v[112:113]
	v_dual_mov_b32 v112, v58 :: v_dual_mov_b32 v72, v59
	s_delay_alu instid0(VALU_DEP_1) | instskip(NEXT) | instid1(VALU_DEP_2)
	v_mad_nc_u64_u32 v[58:59], v22, v9, v[112:113]
	v_mad_nc_u64_u32 v[72:73], v23, v9, v[72:73]
	s_delay_alu instid0(VALU_DEP_2) | instskip(NEXT) | instid1(VALU_DEP_1)
	v_dual_cndmask_b32 v60, v60, v62, s13 :: v_dual_mov_b32 v112, v59
	v_add_nc_u64_e32 v[58:59], v[72:73], v[112:113]
	s_delay_alu instid0(VALU_DEP_2) | instskip(NEXT) | instid1(VALU_DEP_1)
	v_dual_mov_b32 v112, v60 :: v_dual_mov_b32 v73, v113
	v_mul_u64_e32 v[62:63], v[112:113], v[16:17]
	s_delay_alu instid0(VALU_DEP_1) | instskip(NEXT) | instid1(VALU_DEP_1)
	v_mov_b32_e32 v112, v63
	v_mad_nc_u64_u32 v[62:63], v61, v8, v[112:113]
	s_delay_alu instid0(VALU_DEP_1) | instskip(NEXT) | instid1(VALU_DEP_1)
	v_dual_mov_b32 v112, v62 :: v_dual_mov_b32 v72, v63
	v_mad_nc_u64_u32 v[62:63], v60, v9, v[112:113]
	s_delay_alu instid0(VALU_DEP_2) | instskip(NEXT) | instid1(VALU_DEP_2)
	v_mad_nc_u64_u32 v[72:73], v61, v9, v[72:73]
	v_mov_b32_e32 v112, v63
	s_delay_alu instid0(VALU_DEP_1) | instskip(SKIP_1) | instid1(VALU_DEP_2)
	v_add_nc_u64_e32 v[62:63], v[72:73], v[112:113]
	v_mul_u64_e32 v[72:73], s[16:17], v[58:59]
	v_mul_u64_e32 v[74:75], s[16:17], v[62:63]
	s_delay_alu instid0(VALU_DEP_2) | instskip(SKIP_1) | instid1(VALU_DEP_3)
	v_sub_nc_u64_e32 v[22:23], v[22:23], v[72:73]
	v_mov_b32_e32 v73, s21
	v_sub_nc_u64_e32 v[60:61], v[60:61], v[74:75]
	s_delay_alu instid0(VALU_DEP_3) | instskip(NEXT) | instid1(VALU_DEP_1)
	v_cmp_le_u64_e64 s14, s[16:17], v[22:23]
	v_cndmask_b32_e64 v76, 0, 1, s14
	s_delay_alu instid0(VALU_DEP_3) | instskip(NEXT) | instid1(VALU_DEP_2)
	v_cmp_le_u64_e64 s14, s[16:17], v[60:61]
	v_add_nc_u64_e32 v[22:23], v[58:59], v[76:77]
	s_delay_alu instid0(VALU_DEP_2) | instskip(NEXT) | instid1(VALU_DEP_2)
	v_cndmask_b32_e64 v72, 0, 1, s14
	v_sub_nc_u64_e32 v[60:61], 0, v[22:23]
	s_delay_alu instid0(VALU_DEP_2) | instskip(NEXT) | instid1(VALU_DEP_2)
	v_add_nc_u64_e32 v[58:59], v[62:63], v[72:73]
	v_dual_cndmask_b32 v23, v23, v61 :: v_dual_sub_nc_u32 v20, v20, v52
	s_delay_alu instid0(VALU_DEP_2) | instskip(NEXT) | instid1(VALU_DEP_4)
	v_sub_nc_u64_e32 v[62:63], 0, v[58:59]
	v_cndmask_b32_e32 v22, v22, v60, vcc_lo
	s_delay_alu instid0(VALU_DEP_3) | instskip(NEXT) | instid1(VALU_DEP_3)
	v_cmp_gt_i32_e32 vcc_lo, 1, v20
	v_dual_cndmask_b32 v59, v59, v63, s13 :: v_dual_cndmask_b32 v58, v58, v62, s13
	s_clause 0x1
	flat_store_b64 v[14:15], v[22:23] th:TH_STORE_NT
	flat_store_b64 v[14:15], v[58:59] offset:256 th:TH_STORE_NT
	s_wait_xcnt 0x0
	v_add_nc_u64_e32 v[14:15], v[14:15], v[70:71]
	s_or_b32 s44, vcc_lo, s44
	s_delay_alu instid0(SALU_CYCLE_1)
	s_and_not1_b32 exec_lo, exec_lo, s44
	s_cbranch_execnz .LBB4_665
; %bb.666:                              ;   in Loop: Header=BB4_497 Depth=2
	s_or_b32 exec_lo, exec_lo, s44
.LBB4_667:                              ;   in Loop: Header=BB4_497 Depth=2
	s_delay_alu instid0(SALU_CYCLE_1) | instskip(SKIP_1) | instid1(VALU_DEP_1)
	s_or_b32 exec_lo, exec_lo, s15
	v_lshlrev_b32_e32 v2, 9, v21
	v_cmp_ne_u32_e32 vcc_lo, v43, v2
	s_and_b32 exec_lo, exec_lo, vcc_lo
	s_cbranch_execz .LBB4_676
; %bb.668:                              ;   in Loop: Header=BB4_497 Depth=2
	v_mov_b64_e32 v[8:9], -1
	s_cmp_lt_i32 s20, 1
	s_cbranch_scc1 .LBB4_673
; %bb.669:                              ;   in Loop: Header=BB4_497 Depth=2
	s_cmp_lg_u32 s20, 1
	s_cbranch_scc1 .LBB4_671
; %bb.670:                              ;   in Loop: Header=BB4_497 Depth=2
	s_mov_b64 s[44:45], 0x8000000000000000
	s_mov_b64 s[14:15], 1
	s_branch .LBB4_672
.LBB4_671:                              ;   in Loop: Header=BB4_497 Depth=2
	s_mov_b64 s[14:15], 3
	s_mov_b64 s[44:45], 0
.LBB4_672:                              ;   in Loop: Header=BB4_497 Depth=2
	v_cmp_lt_u64_e64 s13, s[14:15], s[16:17]
	s_or_b64 s[78:79], s[44:45], 2.0
	s_and_b32 s13, s13, exec_lo
	s_cselect_b32 s13, 0, s16
	s_cselect_b32 s45, s45, s79
	;; [unrolled: 1-line block ×3, first 2 shown]
	s_sub_co_i32 s13, s14, s13
	s_or_b64 s[14:15], s[44:45], 0x2000000000000000
	s_lshl_b32 s13, s13, 1
	s_delay_alu instid0(SALU_CYCLE_1) | instskip(NEXT) | instid1(SALU_CYCLE_1)
	s_or_b32 s20, s13, 1
	v_cmp_lt_u64_e64 s13, s[20:21], s[16:17]
	s_and_b32 s13, s13, exec_lo
	s_cselect_b32 s15, s45, s15
	s_cselect_b32 s14, s44, s14
	s_sub_nc_u64 s[44:45], s[20:21], s[16:17]
	s_delay_alu instid0(SALU_CYCLE_1) | instskip(SKIP_1) | instid1(VALU_DEP_1)
	v_min_u64 v[8:9], s[20:21], s[44:45]
	s_or_b64 s[44:45], s[14:15], 0x1000000000000000
	v_lshlrev_b64_e32 v[8:9], 1, v[8:9]
	s_delay_alu instid0(VALU_DEP_1) | instskip(NEXT) | instid1(VALU_DEP_1)
	v_or_b32_e32 v8, 1, v8
	v_sub_nc_u64_e64 v[10:11], v[8:9], s[16:17]
	v_cmp_gt_u64_e32 vcc_lo, s[16:17], v[8:9]
	s_delay_alu instid0(VALU_DEP_2) | instskip(SKIP_3) | instid1(SALU_CYCLE_1)
	v_min_u64 v[8:9], v[8:9], v[10:11]
	s_and_b32 s13, vcc_lo, exec_lo
	s_cselect_b32 s15, s15, s45
	s_cselect_b32 s14, s14, s44
	s_or_b64 s[44:45], s[14:15], 0x800000000000000
	s_delay_alu instid0(VALU_DEP_1) | instskip(NEXT) | instid1(VALU_DEP_1)
	v_lshlrev_b64_e32 v[8:9], 1, v[8:9]
	v_or_b32_e32 v8, 1, v8
	s_delay_alu instid0(VALU_DEP_1) | instskip(SKIP_1) | instid1(VALU_DEP_2)
	v_sub_nc_u64_e64 v[10:11], v[8:9], s[16:17]
	v_cmp_gt_u64_e32 vcc_lo, s[16:17], v[8:9]
	v_min_u64 v[8:9], v[8:9], v[10:11]
	s_and_b32 s13, vcc_lo, exec_lo
	s_cselect_b32 s15, s15, s45
	s_cselect_b32 s14, s14, s44
	s_delay_alu instid0(SALU_CYCLE_1) | instskip(NEXT) | instid1(VALU_DEP_1)
	s_or_b64 s[44:45], s[14:15], 0x400000000000000
	v_lshlrev_b64_e32 v[8:9], 1, v[8:9]
	s_delay_alu instid0(VALU_DEP_1) | instskip(NEXT) | instid1(VALU_DEP_1)
	v_or_b32_e32 v8, 1, v8
	v_sub_nc_u64_e64 v[10:11], v[8:9], s[16:17]
	v_cmp_gt_u64_e32 vcc_lo, s[16:17], v[8:9]
	s_delay_alu instid0(VALU_DEP_2) | instskip(SKIP_3) | instid1(SALU_CYCLE_1)
	v_min_u64 v[8:9], v[8:9], v[10:11]
	s_and_b32 s13, vcc_lo, exec_lo
	s_cselect_b32 s15, s15, s45
	s_cselect_b32 s14, s14, s44
	s_or_b64 s[44:45], s[14:15], 0x200000000000000
	s_delay_alu instid0(VALU_DEP_1) | instskip(NEXT) | instid1(VALU_DEP_1)
	v_lshlrev_b64_e32 v[8:9], 1, v[8:9]
	v_or_b32_e32 v8, 1, v8
	s_delay_alu instid0(VALU_DEP_1) | instskip(SKIP_1) | instid1(VALU_DEP_2)
	v_sub_nc_u64_e64 v[10:11], v[8:9], s[16:17]
	v_cmp_gt_u64_e32 vcc_lo, s[16:17], v[8:9]
	v_min_u64 v[8:9], v[8:9], v[10:11]
	s_and_b32 s13, vcc_lo, exec_lo
	s_cselect_b32 s15, s15, s45
	s_cselect_b32 s14, s14, s44
	s_delay_alu instid0(SALU_CYCLE_1) | instskip(NEXT) | instid1(VALU_DEP_1)
	;; [unrolled: 23-line block ×29, first 2 shown]
	s_or_b64 s[44:45], s[14:15], 4
	v_lshlrev_b64_e32 v[8:9], 1, v[8:9]
	s_delay_alu instid0(VALU_DEP_1) | instskip(NEXT) | instid1(VALU_DEP_1)
	v_or_b32_e32 v8, 1, v8
	v_sub_nc_u64_e64 v[10:11], v[8:9], s[16:17]
	v_cmp_gt_u64_e32 vcc_lo, s[16:17], v[8:9]
	s_delay_alu instid0(VALU_DEP_2) | instskip(SKIP_3) | instid1(SALU_CYCLE_1)
	v_min_u64 v[8:9], v[8:9], v[10:11]
	s_and_b32 s13, vcc_lo, exec_lo
	s_cselect_b32 s15, s15, s45
	s_cselect_b32 s14, s14, s44
	s_or_b64 s[44:45], s[14:15], 2
	s_delay_alu instid0(VALU_DEP_1) | instskip(NEXT) | instid1(VALU_DEP_1)
	v_lshlrev_b64_e32 v[8:9], 1, v[8:9]
	v_or_b32_e32 v8, 1, v8
	s_delay_alu instid0(VALU_DEP_1) | instskip(SKIP_1) | instid1(VALU_DEP_2)
	v_sub_nc_u64_e64 v[10:11], v[8:9], s[16:17]
	v_cmp_gt_u64_e32 vcc_lo, s[16:17], v[8:9]
	v_min_u64 v[8:9], v[8:9], v[10:11]
	s_and_b32 s13, vcc_lo, exec_lo
	s_cselect_b32 s13, s15, s45
	s_cselect_b32 s14, s14, s44
	s_delay_alu instid0(VALU_DEP_1) | instskip(NEXT) | instid1(VALU_DEP_1)
	v_lshlrev_b64_e32 v[8:9], 1, v[8:9]
	v_or_b32_e32 v8, 1, v8
	s_delay_alu instid0(VALU_DEP_1) | instskip(SKIP_2) | instid1(VALU_DEP_1)
	v_cmp_le_u64_e32 vcc_lo, s[16:17], v[8:9]
	v_mov_b32_e32 v9, s13
	v_cndmask_b32_e64 v8, 0, 1, vcc_lo
	v_or_b32_e32 v8, s14, v8
.LBB4_673:                              ;   in Loop: Header=BB4_497 Depth=2
	v_lshlrev_b32_e32 v3, 5, v20
	s_delay_alu instid0(VALU_DEP_1) | instskip(NEXT) | instid1(VALU_DEP_1)
	v_sub_nc_u32_e32 v3, v19, v3
	v_ashrrev_i32_e32 v10, 31, v3
	s_delay_alu instid0(VALU_DEP_1) | instskip(NEXT) | instid1(VALU_DEP_1)
	v_lshrrev_b32_e32 v10, 27, v10
	v_add_nc_u32_e32 v10, v3, v10
	s_delay_alu instid0(VALU_DEP_1) | instskip(NEXT) | instid1(VALU_DEP_1)
	v_and_b32_e32 v11, 0x1fffffe0, v10
	v_dual_lshlrev_b32 v10, 3, v10 :: v_dual_sub_nc_u32 v3, v3, v11
	s_delay_alu instid0(VALU_DEP_1) | instskip(NEXT) | instid1(VALU_DEP_1)
	v_and_b32_e32 v10, 0xffffff00, v10
	v_lshl_add_u32 v10, v3, 3, v10
	s_delay_alu instid0(VALU_DEP_1) | instskip(NEXT) | instid1(VALU_DEP_1)
	v_add_nc_u32_e32 v3, v2, v10
	v_sub_nc_u32_e32 v19, v43, v3
	s_delay_alu instid0(VALU_DEP_1)
	v_cmp_lt_i32_e32 vcc_lo, 7, v19
	s_and_b32 exec_lo, exec_lo, vcc_lo
	s_cbranch_execz .LBB4_676
; %bb.674:                              ;   in Loop: Header=BB4_497 Depth=2
	s_trap 2
	ds_load_b64 v[12:13], v2
	v_add3_u32 v14, v2, v18, v10
	v_mov_b32_e32 v17, v113
	s_cmp_lt_i32 s75, 0
	v_mov_b32_e32 v16, v8
	s_mov_b32 s14, 0
	v_ashrrev_i32_e32 v15, 31, v14
	s_cselect_b32 s15, -1, 0
	s_delay_alu instid0(VALU_DEP_1)
	v_add_nc_u64_e32 v[10:11], v[14:15], v[46:47]
	s_wait_dscnt 0x0
	v_add_nc_u64_e32 v[12:13], v[12:13], v[14:15]
	v_add_nc_u64_e32 v[14:15], v[14:15], v[56:57]
.LBB4_675:                              ;   Parent Loop BB4_47 Depth=1
                                        ;     Parent Loop BB4_497 Depth=2
                                        ; =>    This Inner Loop Header: Depth=3
	flat_load_b64 v[20:21], v[10:11] th:TH_LOAD_NT
	flat_load_b64 v[22:23], v[12:13] th:TH_LOAD_NT
	s_wait_xcnt 0x1
	v_add_nc_u64_e32 v[10:11], v[10:11], v[80:81]
	s_wait_xcnt 0x0
	v_add_nc_u64_e32 v[12:13], v[12:13], v[80:81]
	v_mov_b32_e32 v47, v113
	s_wait_loadcnt_dscnt 0x0
	v_add_nc_u64_e32 v[20:21], v[22:23], v[20:21]
	s_delay_alu instid0(VALU_DEP_1) | instskip(SKIP_2) | instid1(VALU_DEP_1)
	v_cmp_gt_i64_e32 vcc_lo, 0, v[20:21]
	v_sub_nc_u64_e32 v[22:23], 0, v[20:21]
	s_and_b32 vcc_lo, s15, vcc_lo
	v_dual_cndmask_b32 v21, v21, v23 :: v_dual_cndmask_b32 v20, v20, v22
	s_delay_alu instid0(VALU_DEP_1) | instskip(NEXT) | instid1(VALU_DEP_1)
	v_mov_b32_e32 v112, v20
	v_mul_u64_e32 v[22:23], v[112:113], v[16:17]
	s_delay_alu instid0(VALU_DEP_1) | instskip(NEXT) | instid1(VALU_DEP_1)
	v_mov_b32_e32 v112, v23
	v_mad_nc_u64_u32 v[22:23], v21, v8, v[112:113]
	s_delay_alu instid0(VALU_DEP_1) | instskip(NEXT) | instid1(VALU_DEP_1)
	v_dual_mov_b32 v112, v22 :: v_dual_mov_b32 v46, v23
	v_mad_nc_u64_u32 v[22:23], v20, v9, v[112:113]
	s_delay_alu instid0(VALU_DEP_2) | instskip(NEXT) | instid1(VALU_DEP_2)
	v_mad_nc_u64_u32 v[46:47], v21, v9, v[46:47]
	v_mov_b32_e32 v112, v23
	s_delay_alu instid0(VALU_DEP_1) | instskip(NEXT) | instid1(VALU_DEP_1)
	v_add_nc_u64_e32 v[22:23], v[46:47], v[112:113]
	v_mul_u64_e32 v[46:47], s[16:17], v[22:23]
	s_delay_alu instid0(VALU_DEP_1) | instskip(SKIP_1) | instid1(VALU_DEP_2)
	v_sub_nc_u64_e32 v[20:21], v[20:21], v[46:47]
	v_mov_b32_e32 v47, s21
	v_cmp_le_u64_e64 s13, s[16:17], v[20:21]
	s_delay_alu instid0(VALU_DEP_1) | instskip(NEXT) | instid1(VALU_DEP_1)
	v_cndmask_b32_e64 v46, 0, 1, s13
	v_add_nc_u64_e32 v[20:21], v[22:23], v[46:47]
	s_delay_alu instid0(VALU_DEP_1) | instskip(NEXT) | instid1(VALU_DEP_1)
	v_sub_nc_u64_e32 v[22:23], 0, v[20:21]
	v_dual_cndmask_b32 v20, v20, v22 :: v_dual_sub_nc_u32 v19, v19, v80
	s_delay_alu instid0(VALU_DEP_2) | instskip(NEXT) | instid1(VALU_DEP_2)
	v_cndmask_b32_e32 v21, v21, v23, vcc_lo
	v_cmp_gt_i32_e32 vcc_lo, 8, v19
	flat_store_b64 v[14:15], v[20:21] th:TH_STORE_NT
	s_wait_xcnt 0x0
	v_add_nc_u64_e32 v[14:15], v[14:15], v[80:81]
	s_or_b32 s14, vcc_lo, s14
	s_delay_alu instid0(SALU_CYCLE_1)
	s_and_not1_b32 exec_lo, exec_lo, s14
	s_cbranch_execnz .LBB4_675
.LBB4_676:                              ;   in Loop: Header=BB4_497 Depth=2
	s_or_b32 exec_lo, exec_lo, s76
	v_cmp_lt_i32_e64 s13, 0, v41
	s_and_saveexec_b32 s14, s2
	s_cbranch_execz .LBB4_576
.LBB4_677:                              ;   in Loop: Header=BB4_497 Depth=2
	s_and_saveexec_b32 s15, s3
	s_delay_alu instid0(SALU_CYCLE_1)
	s_xor_b32 s15, exec_lo, s15
	s_cbranch_execz .LBB4_692
; %bb.678:                              ;   in Loop: Header=BB4_497 Depth=2
	s_and_saveexec_b32 s16, s6
	s_cbranch_execz .LBB4_691
; %bb.679:                              ;   in Loop: Header=BB4_497 Depth=2
	s_mov_b32 s20, exec_lo
	s_mov_b32 s17, exec_lo
	v_mbcnt_lo_u32_b32 v2, s20, 0
	global_wb scope:SCOPE_DEV
	s_wait_storecnt 0x0
	s_wait_loadcnt_dscnt 0x0
	global_inv scope:SCOPE_DEV
	v_cmpx_eq_u32_e32 0, v2
	s_cbranch_execz .LBB4_681
; %bb.680:                              ;   in Loop: Header=BB4_497 Depth=2
	s_bcnt1_i32_b32 s20, s20
	s_delay_alu instid0(SALU_CYCLE_1)
	v_mov_b32_e32 v112, s20
	s_wait_loadcnt 0x0
	ds_add_u64 v2, v[112:113]
	s_trap 2
.LBB4_681:                              ;   in Loop: Header=BB4_497 Depth=2
	s_or_b32 exec_lo, exec_lo, s17
	s_trap 2
	ds_load_b64 v[2:3], v2
	s_wait_dscnt 0x0
	v_add_nc_u64_e32 v[48:49], v[48:49], v[52:53]
	s_mov_b32 s17, exec_lo
	s_delay_alu instid0(VALU_DEP_1)
	v_cmpx_lt_u64_e64 v[2:3], v[48:49]
	s_cbranch_execz .LBB4_690
; %bb.682:                              ;   in Loop: Header=BB4_497 Depth=2
	s_mov_b32 s20, 0
	s_mov_b32 s75, 0
                                        ; implicit-def: $sgpr44
                                        ; implicit-def: $sgpr45
	s_branch .LBB4_684
.LBB4_683:                              ;   in Loop: Header=BB4_684 Depth=3
	s_or_b32 exec_lo, exec_lo, s77
	s_delay_alu instid0(SALU_CYCLE_1) | instskip(NEXT) | instid1(SALU_CYCLE_1)
	s_and_b32 s76, exec_lo, s78
	s_or_b32 s20, s76, s20
	s_and_not1_b32 s44, s44, exec_lo
	s_and_b32 s76, s45, exec_lo
	s_delay_alu instid0(SALU_CYCLE_1)
	s_or_b32 s44, s44, s76
	s_and_not1_b32 exec_lo, exec_lo, s20
	s_cbranch_execz .LBB4_688
.LBB4_684:                              ;   Parent Loop BB4_47 Depth=1
                                        ;     Parent Loop BB4_497 Depth=2
                                        ; =>    This Inner Loop Header: Depth=3
	s_add_co_i32 s75, s75, 1
	s_delay_alu instid0(SALU_CYCLE_1) | instskip(SKIP_1) | instid1(SALU_CYCLE_1)
	s_cmp_lg_u32 s75, 0x2710
	s_cselect_b32 s76, -1, 0
	s_and_b32 vcc_lo, exec_lo, s76
	s_cbranch_vccz .LBB4_686
; %bb.685:                              ;   in Loop: Header=BB4_684 Depth=3
	s_mov_b32 s78, -1
	s_or_b32 s45, s45, exec_lo
	s_and_saveexec_b32 s77, s76
	s_cbranch_execz .LBB4_683
	s_branch .LBB4_687
.LBB4_686:                              ;   in Loop: Header=BB4_684 Depth=3
	s_trap 2
	ds_load_b64 v[2:3], v2
	s_and_not1_b32 s76, s76, exec_lo
	s_mov_b32 s75, 0
	s_wait_loadcnt_dscnt 0x0
	flat_load_b32 v2, v[2:3] scope:SCOPE_SYS
	s_wait_loadcnt_dscnt 0x0
	global_inv scope:SCOPE_SYS
	v_cmp_eq_u32_e32 vcc_lo, 0, v2
	s_and_b32 s77, vcc_lo, exec_lo
	s_delay_alu instid0(SALU_CYCLE_1)
	s_or_b32 s76, s76, s77
	s_mov_b32 s78, -1
	s_or_b32 s45, s45, exec_lo
	s_and_saveexec_b32 s77, s76
	s_cbranch_execz .LBB4_683
.LBB4_687:                              ;   in Loop: Header=BB4_684 Depth=3
	s_sleep 1
	s_trap 2
	ds_load_b64 v[2:3], v2
	s_wait_dscnt 0x0
	s_and_not1_b32 s45, s45, exec_lo
	v_cmp_ge_u64_e32 vcc_lo, v[2:3], v[48:49]
	s_or_not1_b32 s78, vcc_lo, exec_lo
	s_branch .LBB4_683
.LBB4_688:                              ;   in Loop: Header=BB4_497 Depth=2
	s_or_b32 exec_lo, exec_lo, s20
	s_and_saveexec_b32 s20, s44
	s_delay_alu instid0(SALU_CYCLE_1)
	s_xor_b32 s20, exec_lo, s20
	s_cbranch_execz .LBB4_690
; %bb.689:                              ;   in Loop: Header=BB4_497 Depth=2
	ds_store_b32 v2, v111
	s_trap 2
.LBB4_690:                              ;   in Loop: Header=BB4_497 Depth=2
	s_or_b32 exec_lo, exec_lo, s17
	;;#ASMSTART
	s_wakeup
	;;#ASMEND
.LBB4_691:                              ;   in Loop: Header=BB4_497 Depth=2
	s_or_b32 exec_lo, exec_lo, s16
.LBB4_692:                              ;   in Loop: Header=BB4_497 Depth=2
	s_and_not1_saveexec_b32 s15, s15
	s_cbranch_execz .LBB4_694
; %bb.693:                              ;   in Loop: Header=BB4_497 Depth=2
	global_wb scope:SCOPE_DEV
	s_wait_storecnt 0x0
	s_wait_loadcnt_dscnt 0x0
	global_inv scope:SCOPE_DEV
	s_barrier_signal -1
	s_barrier_wait -1
.LBB4_694:                              ;   in Loop: Header=BB4_497 Depth=2
	s_or_b32 exec_lo, exec_lo, s15
	s_delay_alu instid0(SALU_CYCLE_1) | instskip(SKIP_1) | instid1(SALU_CYCLE_1)
	s_or_b32 exec_lo, exec_lo, s14
                                        ; implicit-def: $vgpr2
	s_and_saveexec_b32 s14, s12
	s_xor_b32 s14, exec_lo, s14
	s_cbranch_execnz .LBB4_577
.LBB4_695:                              ;   in Loop: Header=BB4_497 Depth=2
	s_and_not1_saveexec_b32 s13, s14
	s_cbranch_execz .LBB4_714
.LBB4_696:                              ;   in Loop: Header=BB4_497 Depth=2
	s_and_saveexec_b32 s14, s3
	s_delay_alu instid0(SALU_CYCLE_1)
	s_xor_b32 s14, exec_lo, s14
	s_cbranch_execz .LBB4_711
; %bb.697:                              ;   in Loop: Header=BB4_497 Depth=2
	s_and_saveexec_b32 s15, s6
	s_cbranch_execz .LBB4_710
; %bb.698:                              ;   in Loop: Header=BB4_497 Depth=2
	s_mov_b32 s17, exec_lo
	s_mov_b32 s16, exec_lo
	v_mbcnt_lo_u32_b32 v2, s17, 0
	;;#ASMSTART
	s_waitcnt lgkmcnt(0) vmcnt(0)
	;;#ASMEND
	s_delay_alu instid0(VALU_DEP_1)
	v_cmpx_eq_u32_e32 0, v2
	s_cbranch_execz .LBB4_700
; %bb.699:                              ;   in Loop: Header=BB4_497 Depth=2
	s_bcnt1_i32_b32 s17, s17
	s_delay_alu instid0(SALU_CYCLE_1)
	v_mov_b32_e32 v112, s17
	s_wait_storecnt 0x0
	s_wait_loadcnt_dscnt 0x0
	ds_add_u64 v2, v[112:113]
	s_trap 2
.LBB4_700:                              ;   in Loop: Header=BB4_497 Depth=2
	s_or_b32 exec_lo, exec_lo, s16
	s_trap 2
	ds_load_b64 v[2:3], v2
	s_wait_dscnt 0x0
	v_add_nc_u64_e32 v[48:49], v[48:49], v[52:53]
	s_mov_b32 s16, exec_lo
	s_delay_alu instid0(VALU_DEP_1)
	v_cmpx_lt_u64_e64 v[2:3], v[48:49]
	s_cbranch_execz .LBB4_709
; %bb.701:                              ;   in Loop: Header=BB4_497 Depth=2
	s_mov_b32 s17, 0
	s_mov_b32 s45, 0
                                        ; implicit-def: $sgpr20
                                        ; implicit-def: $sgpr44
	s_branch .LBB4_703
.LBB4_702:                              ;   in Loop: Header=BB4_703 Depth=3
	s_or_b32 exec_lo, exec_lo, s76
	s_delay_alu instid0(SALU_CYCLE_1) | instskip(NEXT) | instid1(SALU_CYCLE_1)
	s_and_b32 s75, exec_lo, s77
	s_or_b32 s17, s75, s17
	s_and_not1_b32 s20, s20, exec_lo
	s_and_b32 s75, s44, exec_lo
	s_delay_alu instid0(SALU_CYCLE_1)
	s_or_b32 s20, s20, s75
	s_and_not1_b32 exec_lo, exec_lo, s17
	s_cbranch_execz .LBB4_707
.LBB4_703:                              ;   Parent Loop BB4_47 Depth=1
                                        ;     Parent Loop BB4_497 Depth=2
                                        ; =>    This Inner Loop Header: Depth=3
	s_add_co_i32 s45, s45, 1
	s_delay_alu instid0(SALU_CYCLE_1) | instskip(SKIP_1) | instid1(SALU_CYCLE_1)
	s_cmp_lg_u32 s45, 0x2710
	s_cselect_b32 s75, -1, 0
	s_and_b32 vcc_lo, exec_lo, s75
	s_cbranch_vccz .LBB4_705
; %bb.704:                              ;   in Loop: Header=BB4_703 Depth=3
	s_mov_b32 s77, -1
	s_or_b32 s44, s44, exec_lo
	s_and_saveexec_b32 s76, s75
	s_cbranch_execz .LBB4_702
	s_branch .LBB4_706
.LBB4_705:                              ;   in Loop: Header=BB4_703 Depth=3
	s_trap 2
	ds_load_b64 v[2:3], v2
	s_and_not1_b32 s75, s75, exec_lo
	s_mov_b32 s45, 0
	s_wait_storecnt 0x0
	s_wait_loadcnt_dscnt 0x0
	flat_load_b32 v2, v[2:3] scope:SCOPE_SYS
	s_wait_loadcnt_dscnt 0x0
	global_inv scope:SCOPE_SYS
	v_cmp_eq_u32_e32 vcc_lo, 0, v2
	s_and_b32 s76, vcc_lo, exec_lo
	s_delay_alu instid0(SALU_CYCLE_1)
	s_or_b32 s75, s75, s76
	s_mov_b32 s77, -1
	s_or_b32 s44, s44, exec_lo
	s_and_saveexec_b32 s76, s75
	s_cbranch_execz .LBB4_702
.LBB4_706:                              ;   in Loop: Header=BB4_703 Depth=3
	s_sleep 1
	s_trap 2
	ds_load_b64 v[2:3], v2
	s_wait_dscnt 0x0
	s_and_not1_b32 s44, s44, exec_lo
	v_cmp_ge_u64_e32 vcc_lo, v[2:3], v[48:49]
	s_or_not1_b32 s77, vcc_lo, exec_lo
	s_branch .LBB4_702
.LBB4_707:                              ;   in Loop: Header=BB4_497 Depth=2
	s_or_b32 exec_lo, exec_lo, s17
	s_and_saveexec_b32 s17, s20
	s_delay_alu instid0(SALU_CYCLE_1)
	s_xor_b32 s17, exec_lo, s17
	s_cbranch_execz .LBB4_709
; %bb.708:                              ;   in Loop: Header=BB4_497 Depth=2
	ds_store_b32 v2, v111
	s_trap 2
.LBB4_709:                              ;   in Loop: Header=BB4_497 Depth=2
	s_or_b32 exec_lo, exec_lo, s16
	;;#ASMSTART
	s_wakeup
	;;#ASMEND
.LBB4_710:                              ;   in Loop: Header=BB4_497 Depth=2
	s_or_b32 exec_lo, exec_lo, s15
.LBB4_711:                              ;   in Loop: Header=BB4_497 Depth=2
	s_and_not1_saveexec_b32 s14, s14
	s_cbranch_execz .LBB4_713
; %bb.712:                              ;   in Loop: Header=BB4_497 Depth=2
	;;#ASMSTART
	s_waitcnt lgkmcnt(0) vmcnt(0)
	;;#ASMEND
	s_barrier_signal -1
	s_barrier_wait -1
.LBB4_713:                              ;   in Loop: Header=BB4_497 Depth=2
	s_or_b32 exec_lo, exec_lo, s14
	v_and_b32_e32 v2, 16, v30
.LBB4_714:                              ;   in Loop: Header=BB4_497 Depth=2
	s_or_b32 exec_lo, exec_lo, s13
	s_delay_alu instid0(VALU_DEP_1) | instskip(SKIP_1) | instid1(SALU_CYCLE_1)
	v_cmp_ne_u32_e32 vcc_lo, 0, v2
	s_xor_b32 s13, s4, -1
	s_and_b32 s14, vcc_lo, s13
	s_delay_alu instid0(SALU_CYCLE_1)
	s_and_saveexec_b32 s13, s14
	s_cbranch_execz .LBB4_716
; %bb.715:                              ;   in Loop: Header=BB4_497 Depth=2
	global_wb scope:SCOPE_SYS
	s_wait_storecnt 0x0
	s_wait_loadcnt_dscnt 0x0
	flat_store_b32 v[38:39], v111 scope:SCOPE_SYS
.LBB4_716:                              ;   in Loop: Header=BB4_497 Depth=2
	s_wait_xcnt 0x0
	s_or_b32 exec_lo, exec_lo, s13
	v_and_b32_e32 v2, 48, v30
	s_mov_b32 s13, exec_lo
	s_delay_alu instid0(VALU_DEP_1)
	v_cmpx_ne_u32_e32 0, v2
	s_cbranch_execz .LBB4_496
; %bb.717:                              ;   in Loop: Header=BB4_497 Depth=2
	v_add_nc_u64_e32 v[114:115], 2, v[114:115]
	global_wb scope:SCOPE_SYS
	s_wait_storecnt 0x0
	s_wait_loadcnt_dscnt 0x0
	flat_store_b64 v[32:33], v[114:115] scope:SCOPE_SYS
	s_branch .LBB4_496
.LBB4_718:                              ;   in Loop: Header=BB4_47 Depth=1
	s_or_b32 exec_lo, exec_lo, s72
.LBB4_719:                              ;   in Loop: Header=BB4_47 Depth=1
	s_delay_alu instid0(SALU_CYCLE_1) | instskip(NEXT) | instid1(SALU_CYCLE_1)
	s_or_b32 exec_lo, exec_lo, s41
	s_mov_b32 s14, exec_lo
	v_cmpx_gt_i32_e32 2, v2
	s_cbranch_execz .LBB4_795
; %bb.720:                              ;   in Loop: Header=BB4_47 Depth=1
	v_cmp_eq_u32_e64 s16, 0, v2
	s_mov_b32 s15, 0
	s_branch .LBB4_722
.LBB4_721:                              ;   in Loop: Header=BB4_722 Depth=2
	s_wait_xcnt 0x0
	s_or_b32 exec_lo, exec_lo, s13
	v_add_nc_u32_e32 v42, v40, v42
	s_mov_b32 s16, 0
	s_and_not1_b32 exec_lo, exec_lo, s15
	s_cbranch_execz .LBB4_794
.LBB4_722:                              ;   Parent Loop BB4_47 Depth=1
                                        ; =>  This Loop Header: Depth=2
                                        ;       Child Loop BB4_728 Depth 3
                                        ;       Child Loop BB4_756 Depth 3
	;; [unrolled: 1-line block ×3, first 2 shown]
	s_delay_alu instid0(VALU_DEP_1) | instskip(SKIP_2) | instid1(VALU_DEP_2)
	v_sub_nc_u32_e32 v2, v122, v42
	v_and_b32_e32 v3, 12, v30
	s_mov_b32 s17, exec_lo
	v_min_i32_e32 v40, v40, v2
	s_delay_alu instid0(VALU_DEP_2)
	v_cmpx_ne_u32_e32 0, v3
	s_cbranch_execz .LBB4_748
; %bb.723:                              ;   in Loop: Header=BB4_722 Depth=2
	v_and_b32_e32 v112, 8, v30
	v_add_nc_u64_e32 v[8:9], 2, v[114:115]
	s_mov_b32 s20, exec_lo
	s_wait_loadcnt_dscnt 0x1
	s_delay_alu instid0(VALU_DEP_2) | instskip(NEXT) | instid1(VALU_DEP_1)
	v_add_nc_u64_e32 v[2:3], v[50:51], v[112:113]
	v_cmpx_lt_u64_e64 v[2:3], v[8:9]
	s_cbranch_execz .LBB4_735
; %bb.724:                              ;   in Loop: Header=BB4_722 Depth=2
	v_and_b32_e32 v2, 64, v30
	s_mov_b32 s41, 0
	s_mov_b32 s73, 0
                                        ; implicit-def: $sgpr44
                                        ; implicit-def: $sgpr45
                                        ; implicit-def: $sgpr72
	s_delay_alu instid0(VALU_DEP_1)
	v_cmp_eq_u32_e32 vcc_lo, 0, v2
	s_branch .LBB4_728
.LBB4_725:                              ;   in Loop: Header=BB4_728 Depth=3
	s_wait_loadcnt_dscnt 0x0
	v_add_nc_u64_e32 v[2:3], v[50:51], v[112:113]
	s_or_b32 s76, s76, exec_lo
	s_delay_alu instid0(VALU_DEP_1)
	v_cmp_ge_u64_e64 s13, v[2:3], v[8:9]
	s_or_not1_b32 s75, s13, exec_lo
.LBB4_726:                              ;   in Loop: Header=BB4_728 Depth=3
	s_or_b32 exec_lo, exec_lo, s78
	s_delay_alu instid0(SALU_CYCLE_1)
	s_and_not1_b32 s13, s72, exec_lo
	s_and_b32 s72, s76, exec_lo
	s_and_not1_b32 s45, s45, exec_lo
	s_and_b32 s75, s75, exec_lo
	s_or_b32 s72, s13, s72
	s_or_b32 s45, s45, s75
.LBB4_727:                              ;   in Loop: Header=BB4_728 Depth=3
	s_or_b32 exec_lo, exec_lo, s74
	s_delay_alu instid0(SALU_CYCLE_1) | instskip(NEXT) | instid1(SALU_CYCLE_1)
	s_and_b32 s13, exec_lo, s45
	s_or_b32 s41, s13, s41
	s_and_not1_b32 s13, s44, exec_lo
	s_and_b32 s44, s72, exec_lo
	s_delay_alu instid0(SALU_CYCLE_1)
	s_or_b32 s44, s13, s44
	s_and_not1_b32 exec_lo, exec_lo, s41
	s_cbranch_execz .LBB4_732
.LBB4_728:                              ;   Parent Loop BB4_47 Depth=1
                                        ;     Parent Loop BB4_722 Depth=2
                                        ; =>    This Inner Loop Header: Depth=3
	s_sleep 1
	s_wait_loadcnt_dscnt 0x0
	flat_load_b64 v[50:51], v[32:33] scope:SCOPE_SYS
	s_or_b32 s72, s72, exec_lo
	s_or_b32 s45, s45, exec_lo
                                        ; implicit-def: $vgpr10
	s_wait_xcnt 0x0
	s_and_saveexec_b32 s74, vcc_lo
	s_cbranch_execz .LBB4_727
; %bb.729:                              ;   in Loop: Header=BB4_728 Depth=3
	s_cmp_lt_i32 s73, 0x270f
	s_mov_b32 s75, -1
	s_cselect_b32 s77, -1, 0
	s_cmp_gt_i32 s73, 0x270e
	s_cbranch_scc0 .LBB4_731
; %bb.730:                              ;   in Loop: Header=BB4_728 Depth=3
	s_trap 2
	ds_load_b64 v[2:3], v2
	s_and_not1_b32 s73, s77, exec_lo
	s_mov_b32 s76, 0
	s_wait_storecnt 0x0
	s_wait_loadcnt_dscnt 0x0
	flat_load_b32 v10, v[2:3] scope:SCOPE_SYS
	s_wait_loadcnt_dscnt 0x0
	global_inv scope:SCOPE_SYS
	v_cmp_eq_u32_e64 s13, 0, v10
	s_and_b32 s13, s13, exec_lo
	s_delay_alu instid0(SALU_CYCLE_1)
	s_or_b32 s77, s73, s13
	s_mov_b32 s73, 0
	s_and_saveexec_b32 s78, s77
	s_cbranch_execz .LBB4_726
	s_branch .LBB4_725
.LBB4_731:                              ;   in Loop: Header=BB4_728 Depth=3
	s_add_co_i32 s73, s73, 1
	s_mov_b32 s76, -1
                                        ; implicit-def: $vgpr10
	s_and_saveexec_b32 s78, s77
	s_cbranch_execz .LBB4_726
	s_branch .LBB4_725
.LBB4_732:                              ;   in Loop: Header=BB4_722 Depth=2
	s_or_b32 exec_lo, exec_lo, s41
	s_xor_b32 s13, s44, -1
	s_delay_alu instid0(SALU_CYCLE_1) | instskip(NEXT) | instid1(SALU_CYCLE_1)
	s_and_saveexec_b32 s41, s13
	s_xor_b32 s13, exec_lo, s41
	s_cbranch_execz .LBB4_734
; %bb.733:                              ;   in Loop: Header=BB4_722 Depth=2
	v_or_b32_e32 v30, 64, v30
	s_wait_storecnt 0x0
	s_wait_loadcnt_dscnt 0x0
	ds_store_b32 v2, v10
	s_trap 2
.LBB4_734:                              ;   in Loop: Header=BB4_722 Depth=2
	s_or_b32 exec_lo, exec_lo, s13
.LBB4_735:                              ;   in Loop: Header=BB4_722 Depth=2
	s_delay_alu instid0(SALU_CYCLE_1) | instskip(SKIP_3) | instid1(VALU_DEP_1)
	s_or_b32 exec_lo, exec_lo, s20
	v_and_b32_e32 v2, 0x108, v30
	s_mov_b32 s13, exec_lo
	;;#ASMSTART
	s_wakeup
	;;#ASMEND
                                        ; implicit-def: $vgpr10_vgpr11
	v_cmpx_ne_u32_e32 0x108, v2
	s_xor_b32 s13, exec_lo, s13
; %bb.736:                              ;   in Loop: Header=BB4_722 Depth=2
	v_dual_mov_b32 v11, v113 :: v_dual_bitop2_b32 v10, 7, v114 bitop3:0x40
                                        ; implicit-def: $vgpr114_vgpr115
; %bb.737:                              ;   in Loop: Header=BB4_722 Depth=2
	s_and_not1_saveexec_b32 s13, s13
	s_cbranch_execz .LBB4_739
; %bb.738:                              ;   in Loop: Header=BB4_722 Depth=2
	v_dual_ashrrev_i32 v41, 31, v40 :: v_dual_bitop2_b32 v10, 7, v114 bitop3:0x40
	v_mov_b32_e32 v11, v113
	s_delay_alu instid0(VALU_DEP_2) | instskip(NEXT) | instid1(VALU_DEP_3)
	v_mad_nc_u64_u32 v[2:3], v10, 24, v[6:7]
	v_lshlrev_b64_e32 v[12:13], 3, v[40:41]
	flat_store_b64 v[2:3], v[12:13] offset:8
.LBB4_739:                              ;   in Loop: Header=BB4_722 Depth=2
	s_wait_xcnt 0x0
	s_or_b32 exec_lo, exec_lo, s13
	v_and_b32_e32 v2, 0x100, v30
	s_mov_b32 s13, -1
	s_mov_b32 s20, exec_lo
                                        ; implicit-def: $vgpr12_vgpr13
	s_delay_alu instid0(VALU_DEP_1)
	v_cmpx_ne_u32_e32 0, v2
	s_cbranch_execz .LBB4_743
; %bb.740:                              ;   in Loop: Header=BB4_722 Depth=2
	v_mad_nc_u64_u32 v[14:15], v10, 24, v[6:7]
	s_mov_b32 s41, exec_lo
                                        ; implicit-def: $vgpr12_vgpr13
	s_delay_alu instid0(VALU_DEP_1)
	v_mad_u32 v15, v11, 24, v15
	flat_load_b32 v2, v[14:15]
	s_wait_loadcnt_dscnt 0x0
	v_cmp_ne_u32_e32 vcc_lo, 1, v2
	s_wait_xcnt 0x0
	v_cmpx_eq_u32_e32 1, v2
	s_cbranch_execz .LBB4_742
; %bb.741:                              ;   in Loop: Header=BB4_722 Depth=2
	flat_load_b32 v2, v[14:15] offset:4 scope:SCOPE_SYS
	s_wait_loadcnt_dscnt 0x0
	v_ashrrev_i32_e32 v3, 31, v2
	s_delay_alu instid0(VALU_DEP_1)
	v_lshrrev_b64 v[12:13], 3, v[2:3]
.LBB4_742:                              ;   in Loop: Header=BB4_722 Depth=2
	s_wait_xcnt 0x0
	s_or_b32 exec_lo, exec_lo, s41
	s_delay_alu instid0(SALU_CYCLE_1)
	s_or_not1_b32 s13, vcc_lo, exec_lo
.LBB4_743:                              ;   in Loop: Header=BB4_722 Depth=2
	s_or_b32 exec_lo, exec_lo, s20
	s_and_saveexec_b32 s20, s13
; %bb.744:                              ;   in Loop: Header=BB4_722 Depth=2
	v_mul_u64_e32 v[12:13], v[10:11], v[34:35]
; %bb.745:                              ;   in Loop: Header=BB4_722 Depth=2
	s_or_b32 exec_lo, exec_lo, s20
	v_cmp_eq_u32_e32 vcc_lo, 0, v112
	v_and_b32_e32 v11, 0x2000, v30
	s_delay_alu instid0(VALU_DEP_3) | instskip(SKIP_2) | instid1(VALU_DEP_1)
	v_lshl_add_u64 v[2:3], v[12:13], 3, v[36:37]
	s_mov_b32 s13, exec_lo
	v_cndmask_b32_e32 v10, 0xd0, v120, vcc_lo
	v_add_nc_u32_e32 v10, v0, v10
	ds_store_b64 v10, v[2:3] offset:584
	v_cmpx_ne_u32_e32 0, v11
	s_cbranch_execz .LBB4_747
; %bb.746:                              ;   in Loop: Header=BB4_722 Depth=2
	ds_load_b64 v[2:3], v0 offset:872
	s_wait_dscnt 0x0
	v_add_nc_u64_e32 v[2:3], 1, v[2:3]
	ds_store_b64 v0, v[2:3] offset:872
.LBB4_747:                              ;   in Loop: Header=BB4_722 Depth=2
	s_or_b32 exec_lo, exec_lo, s13
	v_mov_b64_e32 v[114:115], v[8:9]
.LBB4_748:                              ;   in Loop: Header=BB4_722 Depth=2
	s_or_b32 exec_lo, exec_lo, s17
	s_xor_b32 s13, s16, -1
	s_delay_alu instid0(SALU_CYCLE_1) | instskip(NEXT) | instid1(SALU_CYCLE_1)
	s_and_b32 s13, exec_lo, s13
	s_or_b32 s15, s13, s15
	s_and_saveexec_b32 s13, s2
	s_cbranch_execz .LBB4_767
; %bb.749:                              ;   in Loop: Header=BB4_722 Depth=2
	s_and_saveexec_b32 s16, s3
	s_delay_alu instid0(SALU_CYCLE_1)
	s_xor_b32 s16, exec_lo, s16
	s_cbranch_execz .LBB4_764
; %bb.750:                              ;   in Loop: Header=BB4_722 Depth=2
	s_and_saveexec_b32 s17, s6
	s_cbranch_execz .LBB4_763
; %bb.751:                              ;   in Loop: Header=BB4_722 Depth=2
	s_mov_b32 s41, exec_lo
	s_mov_b32 s20, exec_lo
	v_mbcnt_lo_u32_b32 v2, s41, 0
	global_wb scope:SCOPE_DEV
	s_wait_storecnt 0x0
	s_wait_loadcnt_dscnt 0x0
	global_inv scope:SCOPE_DEV
	v_cmpx_eq_u32_e32 0, v2
	s_cbranch_execz .LBB4_753
; %bb.752:                              ;   in Loop: Header=BB4_722 Depth=2
	s_bcnt1_i32_b32 s41, s41
	s_delay_alu instid0(SALU_CYCLE_1)
	v_mov_b32_e32 v112, s41
	s_wait_loadcnt 0x0
	ds_add_u64 v2, v[112:113]
	s_trap 2
.LBB4_753:                              ;   in Loop: Header=BB4_722 Depth=2
	s_or_b32 exec_lo, exec_lo, s20
	s_trap 2
	ds_load_b64 v[2:3], v2
	s_wait_dscnt 0x0
	v_add_nc_u64_e32 v[48:49], v[48:49], v[52:53]
	s_mov_b32 s20, exec_lo
	s_delay_alu instid0(VALU_DEP_1)
	v_cmpx_lt_u64_e64 v[2:3], v[48:49]
	s_cbranch_execz .LBB4_762
; %bb.754:                              ;   in Loop: Header=BB4_722 Depth=2
	s_mov_b32 s41, 0
	s_mov_b32 s72, 0
                                        ; implicit-def: $sgpr44
                                        ; implicit-def: $sgpr45
	s_branch .LBB4_756
.LBB4_755:                              ;   in Loop: Header=BB4_756 Depth=3
	s_or_b32 exec_lo, exec_lo, s74
	s_delay_alu instid0(SALU_CYCLE_1) | instskip(NEXT) | instid1(SALU_CYCLE_1)
	s_and_b32 s73, exec_lo, s75
	s_or_b32 s41, s73, s41
	s_and_not1_b32 s44, s44, exec_lo
	s_and_b32 s73, s45, exec_lo
	s_delay_alu instid0(SALU_CYCLE_1)
	s_or_b32 s44, s44, s73
	s_and_not1_b32 exec_lo, exec_lo, s41
	s_cbranch_execz .LBB4_760
.LBB4_756:                              ;   Parent Loop BB4_47 Depth=1
                                        ;     Parent Loop BB4_722 Depth=2
                                        ; =>    This Inner Loop Header: Depth=3
	s_add_co_i32 s72, s72, 1
	s_delay_alu instid0(SALU_CYCLE_1) | instskip(SKIP_1) | instid1(SALU_CYCLE_1)
	s_cmp_lg_u32 s72, 0x2710
	s_cselect_b32 s73, -1, 0
	s_and_b32 vcc_lo, exec_lo, s73
	s_cbranch_vccz .LBB4_758
; %bb.757:                              ;   in Loop: Header=BB4_756 Depth=3
	s_mov_b32 s75, -1
	s_or_b32 s45, s45, exec_lo
	s_and_saveexec_b32 s74, s73
	s_cbranch_execz .LBB4_755
	s_branch .LBB4_759
.LBB4_758:                              ;   in Loop: Header=BB4_756 Depth=3
	s_trap 2
	ds_load_b64 v[2:3], v2
	s_and_not1_b32 s73, s73, exec_lo
	s_mov_b32 s72, 0
	s_wait_loadcnt_dscnt 0x0
	flat_load_b32 v2, v[2:3] scope:SCOPE_SYS
	s_wait_loadcnt_dscnt 0x0
	global_inv scope:SCOPE_SYS
	v_cmp_eq_u32_e32 vcc_lo, 0, v2
	s_and_b32 s74, vcc_lo, exec_lo
	s_delay_alu instid0(SALU_CYCLE_1)
	s_or_b32 s73, s73, s74
	s_mov_b32 s75, -1
	s_or_b32 s45, s45, exec_lo
	s_and_saveexec_b32 s74, s73
	s_cbranch_execz .LBB4_755
.LBB4_759:                              ;   in Loop: Header=BB4_756 Depth=3
	s_sleep 1
	s_trap 2
	ds_load_b64 v[2:3], v2
	s_wait_dscnt 0x0
	s_and_not1_b32 s45, s45, exec_lo
	v_cmp_ge_u64_e32 vcc_lo, v[2:3], v[48:49]
	s_or_not1_b32 s75, vcc_lo, exec_lo
	s_branch .LBB4_755
.LBB4_760:                              ;   in Loop: Header=BB4_722 Depth=2
	s_or_b32 exec_lo, exec_lo, s41
	s_and_saveexec_b32 s41, s44
	s_delay_alu instid0(SALU_CYCLE_1)
	s_xor_b32 s41, exec_lo, s41
	s_cbranch_execz .LBB4_762
; %bb.761:                              ;   in Loop: Header=BB4_722 Depth=2
	ds_store_b32 v2, v111
	s_trap 2
.LBB4_762:                              ;   in Loop: Header=BB4_722 Depth=2
	s_or_b32 exec_lo, exec_lo, s20
	;;#ASMSTART
	s_wakeup
	;;#ASMEND
.LBB4_763:                              ;   in Loop: Header=BB4_722 Depth=2
	s_or_b32 exec_lo, exec_lo, s17
.LBB4_764:                              ;   in Loop: Header=BB4_722 Depth=2
	s_and_not1_saveexec_b32 s16, s16
	s_cbranch_execz .LBB4_766
; %bb.765:                              ;   in Loop: Header=BB4_722 Depth=2
	global_wb scope:SCOPE_DEV
	s_wait_storecnt 0x0
	s_wait_loadcnt_dscnt 0x0
	global_inv scope:SCOPE_DEV
	s_barrier_signal -1
	s_barrier_wait -1
.LBB4_766:                              ;   in Loop: Header=BB4_722 Depth=2
	s_or_b32 exec_lo, exec_lo, s16
.LBB4_767:                              ;   in Loop: Header=BB4_722 Depth=2
	s_delay_alu instid0(SALU_CYCLE_1) | instskip(SKIP_1) | instid1(SALU_CYCLE_1)
	s_or_b32 exec_lo, exec_lo, s13
                                        ; implicit-def: $vgpr2
	s_and_saveexec_b32 s13, s12
	s_xor_b32 s16, exec_lo, s13
	s_cbranch_execz .LBB4_771
; %bb.768:                              ;   in Loop: Header=BB4_722 Depth=2
	s_trap 2
	ds_load_b32 v2, v3
	v_cmp_lt_i32_e32 vcc_lo, 0, v40
	s_wait_dscnt 0x0
	v_readfirstlane_b32 s13, v2
	v_and_b32_e32 v2, 16, v30
	s_cmp_eq_u32 s13, 0
	s_delay_alu instid0(VALU_DEP_1) | instskip(SKIP_3) | instid1(SALU_CYCLE_1)
	v_cmp_ne_u32_e64 s13, 0, v2
	s_cselect_b32 s17, -1, 0
	v_and_b32_e32 v2, 16, v30
	s_and_b32 s17, vcc_lo, s17
	s_and_b32 s17, s13, s17
	s_delay_alu instid0(SALU_CYCLE_1)
	s_and_saveexec_b32 s13, s17
	s_cbranch_execz .LBB4_770
; %bb.769:                              ;   in Loop: Header=BB4_722 Depth=2
	v_mov_b32_e32 v2, 1
	global_wb scope:SCOPE_SYS
	s_wait_loadcnt 0x0
	s_wait_storecnt 0x0
	global_inv scope:SCOPE_SYS
.LBB4_770:                              ;   in Loop: Header=BB4_722 Depth=2
	s_or_b32 exec_lo, exec_lo, s13
	s_and_not1_saveexec_b32 s13, s16
	s_cbranch_execz .LBB4_790
	s_branch .LBB4_772
.LBB4_771:                              ;   in Loop: Header=BB4_722 Depth=2
	s_and_not1_saveexec_b32 s13, s16
	s_cbranch_execz .LBB4_790
.LBB4_772:                              ;   in Loop: Header=BB4_722 Depth=2
	s_and_saveexec_b32 s16, s3
	s_delay_alu instid0(SALU_CYCLE_1)
	s_xor_b32 s16, exec_lo, s16
	s_cbranch_execz .LBB4_787
; %bb.773:                              ;   in Loop: Header=BB4_722 Depth=2
	s_and_saveexec_b32 s17, s6
	s_cbranch_execz .LBB4_786
; %bb.774:                              ;   in Loop: Header=BB4_722 Depth=2
	s_mov_b32 s41, exec_lo
	s_mov_b32 s20, exec_lo
	v_mbcnt_lo_u32_b32 v2, s41, 0
	;;#ASMSTART
	s_waitcnt lgkmcnt(0) vmcnt(0)
	;;#ASMEND
	s_delay_alu instid0(VALU_DEP_1)
	v_cmpx_eq_u32_e32 0, v2
	s_cbranch_execz .LBB4_776
; %bb.775:                              ;   in Loop: Header=BB4_722 Depth=2
	s_bcnt1_i32_b32 s41, s41
	s_delay_alu instid0(SALU_CYCLE_1)
	v_mov_b32_e32 v112, s41
	s_wait_storecnt 0x0
	s_wait_loadcnt_dscnt 0x0
	ds_add_u64 v2, v[112:113]
	s_trap 2
.LBB4_776:                              ;   in Loop: Header=BB4_722 Depth=2
	s_or_b32 exec_lo, exec_lo, s20
	s_trap 2
	ds_load_b64 v[2:3], v2
	s_wait_dscnt 0x0
	v_add_nc_u64_e32 v[48:49], v[48:49], v[52:53]
	s_mov_b32 s20, exec_lo
	s_delay_alu instid0(VALU_DEP_1)
	v_cmpx_lt_u64_e64 v[2:3], v[48:49]
	s_cbranch_execz .LBB4_785
; %bb.777:                              ;   in Loop: Header=BB4_722 Depth=2
	s_mov_b32 s41, 0
	s_mov_b32 s72, 0
                                        ; implicit-def: $sgpr44
                                        ; implicit-def: $sgpr45
	s_branch .LBB4_779
.LBB4_778:                              ;   in Loop: Header=BB4_779 Depth=3
	s_or_b32 exec_lo, exec_lo, s74
	s_delay_alu instid0(SALU_CYCLE_1) | instskip(NEXT) | instid1(SALU_CYCLE_1)
	s_and_b32 s73, exec_lo, s75
	s_or_b32 s41, s73, s41
	s_and_not1_b32 s44, s44, exec_lo
	s_and_b32 s73, s45, exec_lo
	s_delay_alu instid0(SALU_CYCLE_1)
	s_or_b32 s44, s44, s73
	s_and_not1_b32 exec_lo, exec_lo, s41
	s_cbranch_execz .LBB4_783
.LBB4_779:                              ;   Parent Loop BB4_47 Depth=1
                                        ;     Parent Loop BB4_722 Depth=2
                                        ; =>    This Inner Loop Header: Depth=3
	s_add_co_i32 s72, s72, 1
	s_delay_alu instid0(SALU_CYCLE_1) | instskip(SKIP_1) | instid1(SALU_CYCLE_1)
	s_cmp_lg_u32 s72, 0x2710
	s_cselect_b32 s73, -1, 0
	s_and_b32 vcc_lo, exec_lo, s73
	s_cbranch_vccz .LBB4_781
; %bb.780:                              ;   in Loop: Header=BB4_779 Depth=3
	s_mov_b32 s75, -1
	s_or_b32 s45, s45, exec_lo
	s_and_saveexec_b32 s74, s73
	s_cbranch_execz .LBB4_778
	s_branch .LBB4_782
.LBB4_781:                              ;   in Loop: Header=BB4_779 Depth=3
	s_trap 2
	ds_load_b64 v[2:3], v2
	s_and_not1_b32 s73, s73, exec_lo
	s_mov_b32 s72, 0
	s_wait_storecnt 0x0
	s_wait_loadcnt_dscnt 0x0
	flat_load_b32 v2, v[2:3] scope:SCOPE_SYS
	s_wait_loadcnt_dscnt 0x0
	global_inv scope:SCOPE_SYS
	v_cmp_eq_u32_e32 vcc_lo, 0, v2
	s_and_b32 s74, vcc_lo, exec_lo
	s_delay_alu instid0(SALU_CYCLE_1)
	s_or_b32 s73, s73, s74
	s_mov_b32 s75, -1
	s_or_b32 s45, s45, exec_lo
	s_and_saveexec_b32 s74, s73
	s_cbranch_execz .LBB4_778
.LBB4_782:                              ;   in Loop: Header=BB4_779 Depth=3
	s_sleep 1
	s_trap 2
	ds_load_b64 v[2:3], v2
	s_wait_dscnt 0x0
	s_and_not1_b32 s45, s45, exec_lo
	v_cmp_ge_u64_e32 vcc_lo, v[2:3], v[48:49]
	s_or_not1_b32 s75, vcc_lo, exec_lo
	s_branch .LBB4_778
.LBB4_783:                              ;   in Loop: Header=BB4_722 Depth=2
	s_or_b32 exec_lo, exec_lo, s41
	s_and_saveexec_b32 s41, s44
	s_delay_alu instid0(SALU_CYCLE_1)
	s_xor_b32 s41, exec_lo, s41
	s_cbranch_execz .LBB4_785
; %bb.784:                              ;   in Loop: Header=BB4_722 Depth=2
	ds_store_b32 v2, v111
	s_trap 2
.LBB4_785:                              ;   in Loop: Header=BB4_722 Depth=2
	s_or_b32 exec_lo, exec_lo, s20
	;;#ASMSTART
	s_wakeup
	;;#ASMEND
.LBB4_786:                              ;   in Loop: Header=BB4_722 Depth=2
	s_or_b32 exec_lo, exec_lo, s17
.LBB4_787:                              ;   in Loop: Header=BB4_722 Depth=2
	s_and_not1_saveexec_b32 s16, s16
	s_cbranch_execz .LBB4_789
; %bb.788:                              ;   in Loop: Header=BB4_722 Depth=2
	;;#ASMSTART
	s_waitcnt lgkmcnt(0) vmcnt(0)
	;;#ASMEND
	s_barrier_signal -1
	s_barrier_wait -1
.LBB4_789:                              ;   in Loop: Header=BB4_722 Depth=2
	s_or_b32 exec_lo, exec_lo, s16
	v_and_b32_e32 v2, 16, v30
.LBB4_790:                              ;   in Loop: Header=BB4_722 Depth=2
	s_or_b32 exec_lo, exec_lo, s13
	s_delay_alu instid0(VALU_DEP_1) | instskip(SKIP_1) | instid1(SALU_CYCLE_1)
	v_cmp_ne_u32_e32 vcc_lo, 0, v2
	s_xor_b32 s13, s4, -1
	s_and_b32 s16, vcc_lo, s13
	s_delay_alu instid0(SALU_CYCLE_1)
	s_and_saveexec_b32 s13, s16
	s_cbranch_execz .LBB4_792
; %bb.791:                              ;   in Loop: Header=BB4_722 Depth=2
	global_wb scope:SCOPE_SYS
	s_wait_storecnt 0x0
	s_wait_loadcnt_dscnt 0x0
	flat_store_b32 v[38:39], v111 scope:SCOPE_SYS
.LBB4_792:                              ;   in Loop: Header=BB4_722 Depth=2
	s_wait_xcnt 0x0
	s_or_b32 exec_lo, exec_lo, s13
	v_and_b32_e32 v2, 48, v30
	s_mov_b32 s13, exec_lo
	s_delay_alu instid0(VALU_DEP_1)
	v_cmpx_ne_u32_e32 0, v2
	s_cbranch_execz .LBB4_721
; %bb.793:                              ;   in Loop: Header=BB4_722 Depth=2
	v_add_nc_u64_e32 v[114:115], 2, v[114:115]
	global_wb scope:SCOPE_SYS
	s_wait_storecnt 0x0
	s_wait_loadcnt_dscnt 0x0
	flat_store_b64 v[32:33], v[114:115] scope:SCOPE_SYS
	s_branch .LBB4_721
.LBB4_794:                              ;   in Loop: Header=BB4_47 Depth=1
	s_or_b32 exec_lo, exec_lo, s15
.LBB4_795:                              ;   in Loop: Header=BB4_47 Depth=1
	s_delay_alu instid0(SALU_CYCLE_1) | instskip(NEXT) | instid1(SALU_CYCLE_1)
	s_or_b32 exec_lo, exec_lo, s14
	s_and_not1_b32 vcc_lo, exec_lo, s58
	s_cbranch_vccnz .LBB4_1052
; %bb.796:                              ;   in Loop: Header=BB4_47 Depth=1
	s_mov_b32 s20, 1
.LBB4_797:                              ;   Parent Loop BB4_47 Depth=1
                                        ; =>  This Loop Header: Depth=2
                                        ;       Child Loop BB4_800 Depth 3
                                        ;         Child Loop BB4_808 Depth 4
                                        ;         Child Loop BB4_836 Depth 4
	;; [unrolled: 1-line block ×5, first 2 shown]
                                        ;           Child Loop BB4_888 Depth 5
                                        ;         Child Loop BB4_895 Depth 4
                                        ;         Child Loop BB4_900 Depth 4
                                        ;           Child Loop BB4_901 Depth 5
                                        ;         Child Loop BB4_913 Depth 4
                                        ;         Child Loop BB4_918 Depth 4
	;; [unrolled: 1-line block ×6, first 2 shown]
                                        ;       Child Loop BB4_977 Depth 3
                                        ;         Child Loop BB4_983 Depth 4
                                        ;         Child Loop BB4_1011 Depth 4
                                        ;         Child Loop BB4_1034 Depth 4
	s_delay_alu instid0(SALU_CYCLE_1) | instskip(SKIP_4) | instid1(SALU_CYCLE_1)
	s_sub_co_i32 s13, s56, s20
	s_mov_b32 s44, 0
	s_cmp_ge_i32 s13, s18
	v_mov_b32_e32 v14, 0
	s_cselect_b32 s14, s18, 0
	s_sub_co_i32 s14, s13, s14
	s_delay_alu instid0(SALU_CYCLE_1) | instskip(NEXT) | instid1(SALU_CYCLE_1)
	s_ashr_i32 s15, s14, 31
	v_mul_u64_e32 v[8:9], s[14:15], v[26:27]
	s_delay_alu instid0(VALU_DEP_1) | instskip(NEXT) | instid1(VALU_DEP_1)
	v_sub_nc_u64_e32 v[2:3], v[116:117], v[8:9]
	v_min_i64 v[10:11], v[26:27], v[2:3]
	s_delay_alu instid0(VALU_DEP_1) | instskip(SKIP_1) | instid1(VALU_DEP_2)
	v_max_i32_e32 v46, 0, v10
	v_cmp_lt_i32_e32 vcc_lo, 0, v10
	v_add_nc_u32_e32 v2, 31, v46
	s_and_b32 s13, s61, vcc_lo
	s_delay_alu instid0(VALU_DEP_1) | instskip(NEXT) | instid1(VALU_DEP_1)
	v_lshrrev_b32_e32 v2, 1, v2
	v_and_b32_e32 v3, 0x3ffffff0, v2
	s_delay_alu instid0(VALU_DEP_1)
	v_dual_mov_b32 v2, 0 :: v_dual_max_i32 v12, s57, v3
	s_and_saveexec_b32 s41, s13
	s_cbranch_execz .LBB4_974
; %bb.798:                              ;   in Loop: Header=BB4_797 Depth=2
	v_add_nc_u64_e32 v[2:3], v[8:9], v[118:119]
	v_mov_b32_e32 v14, 0
	s_mov_b32 s72, 1
	s_mov_b32 s45, -1
	s_delay_alu instid0(VALU_DEP_2)
	v_lshlrev_b64_e32 v[16:17], 3, v[2:3]
	s_branch .LBB4_800
.LBB4_799:                              ;   in Loop: Header=BB4_800 Depth=3
	s_wait_xcnt 0x0
	s_or_b32 exec_lo, exec_lo, s13
	v_dual_add_nc_u32 v14, v12, v14 :: v_dual_mov_b32 v2, s72
	s_xor_b32 s13, s45, -1
	s_mov_b32 s45, 0
	s_mov_b32 s72, 2
	s_delay_alu instid0(VALU_DEP_1) | instskip(SKIP_1) | instid1(SALU_CYCLE_1)
	v_cmp_ge_i32_e32 vcc_lo, v14, v46
	s_or_b32 s13, s13, vcc_lo
	s_and_b32 s13, exec_lo, s13
	s_delay_alu instid0(SALU_CYCLE_1) | instskip(NEXT) | instid1(SALU_CYCLE_1)
	s_or_b32 s44, s13, s44
	s_and_not1_b32 exec_lo, exec_lo, s44
	s_cbranch_execz .LBB4_973
.LBB4_800:                              ;   Parent Loop BB4_47 Depth=1
                                        ;     Parent Loop BB4_797 Depth=2
                                        ; =>    This Loop Header: Depth=3
                                        ;         Child Loop BB4_808 Depth 4
                                        ;         Child Loop BB4_836 Depth 4
                                        ;         Child Loop BB4_855 Depth 4
                                        ;         Child Loop BB4_882 Depth 4
                                        ;         Child Loop BB4_887 Depth 4
                                        ;           Child Loop BB4_888 Depth 5
                                        ;         Child Loop BB4_895 Depth 4
                                        ;         Child Loop BB4_900 Depth 4
                                        ;           Child Loop BB4_901 Depth 5
                                        ;         Child Loop BB4_913 Depth 4
                                        ;         Child Loop BB4_918 Depth 4
	;; [unrolled: 1-line block ×6, first 2 shown]
	s_and_saveexec_b32 s13, s0
	s_cbranch_execz .LBB4_802
; %bb.801:                              ;   in Loop: Header=BB4_800 Depth=3
	s_trap 2
	ds_load_b128 v[8:11], v10
	s_wait_dscnt 0x0
	v_cmp_ne_u64_e32 vcc_lo, 0, v[10:11]
	v_ashrrev_i32_e32 v15, 31, v14
	v_add_nc_u64_e32 v[18:19], v[10:11], v[16:17]
	v_add_nc_u64_e32 v[8:9], v[8:9], v[16:17]
	s_delay_alu instid0(VALU_DEP_3) | instskip(NEXT) | instid1(VALU_DEP_1)
	v_lshlrev_b64_e32 v[2:3], 3, v[14:15]
	v_add_nc_u64_e32 v[18:19], v[18:19], v[2:3]
	s_delay_alu instid0(VALU_DEP_3) | instskip(NEXT) | instid1(VALU_DEP_2)
	v_add_nc_u64_e32 v[2:3], v[8:9], v[2:3]
	v_dual_cndmask_b32 v9, 0, v19 :: v_dual_cndmask_b32 v8, 0, v18
	ds_store_b64 v8, v[2:3]
	ds_store_b64 v10, v[8:9]
.LBB4_802:                              ;   in Loop: Header=BB4_800 Depth=3
	s_or_b32 exec_lo, exec_lo, s13
	v_sub_nc_u32_e32 v2, v46, v14
	v_and_b32_e32 v3, 12, v30
	s_mov_b32 s14, exec_lo
	s_delay_alu instid0(VALU_DEP_2) | instskip(NEXT) | instid1(VALU_DEP_2)
	v_min_i32_e32 v12, v12, v2
	v_cmpx_ne_u32_e32 0, v3
	s_cbranch_execz .LBB4_828
; %bb.803:                              ;   in Loop: Header=BB4_800 Depth=3
	v_and_b32_e32 v112, 8, v30
	v_add_nc_u64_e32 v[8:9], 2, v[114:115]
	s_mov_b32 s15, exec_lo
	s_wait_loadcnt_dscnt 0x1
	s_delay_alu instid0(VALU_DEP_2) | instskip(NEXT) | instid1(VALU_DEP_1)
	v_add_nc_u64_e32 v[2:3], v[50:51], v[112:113]
	v_cmpx_lt_u64_e64 v[2:3], v[8:9]
	s_cbranch_execz .LBB4_815
; %bb.804:                              ;   in Loop: Header=BB4_800 Depth=3
	v_and_b32_e32 v2, 64, v30
	s_mov_b32 s16, 0
	s_mov_b32 s75, 0
                                        ; implicit-def: $sgpr17
                                        ; implicit-def: $sgpr73
                                        ; implicit-def: $sgpr74
	s_delay_alu instid0(VALU_DEP_1)
	v_cmp_eq_u32_e32 vcc_lo, 0, v2
	s_branch .LBB4_808
.LBB4_805:                              ;   in Loop: Header=BB4_808 Depth=4
	s_wait_loadcnt_dscnt 0x0
	v_add_nc_u64_e32 v[2:3], v[50:51], v[112:113]
	s_or_b32 s78, s78, exec_lo
	s_delay_alu instid0(VALU_DEP_1)
	v_cmp_ge_u64_e64 s13, v[2:3], v[8:9]
	s_or_not1_b32 s77, s13, exec_lo
.LBB4_806:                              ;   in Loop: Header=BB4_808 Depth=4
	s_or_b32 exec_lo, exec_lo, s88
	s_delay_alu instid0(SALU_CYCLE_1)
	s_and_not1_b32 s13, s74, exec_lo
	s_and_b32 s74, s78, exec_lo
	s_and_not1_b32 s73, s73, exec_lo
	s_and_b32 s77, s77, exec_lo
	s_or_b32 s74, s13, s74
	s_or_b32 s73, s73, s77
.LBB4_807:                              ;   in Loop: Header=BB4_808 Depth=4
	s_or_b32 exec_lo, exec_lo, s76
	s_delay_alu instid0(SALU_CYCLE_1) | instskip(NEXT) | instid1(SALU_CYCLE_1)
	s_and_b32 s13, exec_lo, s73
	s_or_b32 s16, s13, s16
	s_and_not1_b32 s13, s17, exec_lo
	s_and_b32 s17, s74, exec_lo
	s_delay_alu instid0(SALU_CYCLE_1)
	s_or_b32 s17, s13, s17
	s_and_not1_b32 exec_lo, exec_lo, s16
	s_cbranch_execz .LBB4_812
.LBB4_808:                              ;   Parent Loop BB4_47 Depth=1
                                        ;     Parent Loop BB4_797 Depth=2
                                        ;       Parent Loop BB4_800 Depth=3
                                        ; =>      This Inner Loop Header: Depth=4
	s_sleep 1
	s_wait_loadcnt_dscnt 0x0
	flat_load_b64 v[50:51], v[32:33] scope:SCOPE_SYS
	s_or_b32 s74, s74, exec_lo
	s_or_b32 s73, s73, exec_lo
                                        ; implicit-def: $vgpr10
	s_wait_xcnt 0x0
	s_and_saveexec_b32 s76, vcc_lo
	s_cbranch_execz .LBB4_807
; %bb.809:                              ;   in Loop: Header=BB4_808 Depth=4
	s_cmp_lt_i32 s75, 0x270f
	s_mov_b32 s77, -1
	s_cselect_b32 s79, -1, 0
	s_cmp_gt_i32 s75, 0x270e
	s_cbranch_scc0 .LBB4_811
; %bb.810:                              ;   in Loop: Header=BB4_808 Depth=4
	s_trap 2
	ds_load_b64 v[2:3], v2
	s_and_not1_b32 s75, s79, exec_lo
	s_mov_b32 s78, 0
	s_wait_storecnt 0x0
	s_wait_loadcnt_dscnt 0x0
	flat_load_b32 v10, v[2:3] scope:SCOPE_SYS
	s_wait_loadcnt_dscnt 0x0
	global_inv scope:SCOPE_SYS
	v_cmp_eq_u32_e64 s13, 0, v10
	s_and_b32 s13, s13, exec_lo
	s_delay_alu instid0(SALU_CYCLE_1)
	s_or_b32 s79, s75, s13
	s_mov_b32 s75, 0
	s_and_saveexec_b32 s88, s79
	s_cbranch_execz .LBB4_806
	s_branch .LBB4_805
.LBB4_811:                              ;   in Loop: Header=BB4_808 Depth=4
	s_add_co_i32 s75, s75, 1
	s_mov_b32 s78, -1
                                        ; implicit-def: $vgpr10
	s_and_saveexec_b32 s88, s79
	s_cbranch_execz .LBB4_806
	s_branch .LBB4_805
.LBB4_812:                              ;   in Loop: Header=BB4_800 Depth=3
	s_or_b32 exec_lo, exec_lo, s16
	s_xor_b32 s13, s17, -1
	s_delay_alu instid0(SALU_CYCLE_1) | instskip(NEXT) | instid1(SALU_CYCLE_1)
	s_and_saveexec_b32 s16, s13
	s_xor_b32 s13, exec_lo, s16
	s_cbranch_execz .LBB4_814
; %bb.813:                              ;   in Loop: Header=BB4_800 Depth=3
	v_or_b32_e32 v30, 64, v30
	s_wait_storecnt 0x0
	s_wait_loadcnt_dscnt 0x0
	ds_store_b32 v2, v10
	s_trap 2
.LBB4_814:                              ;   in Loop: Header=BB4_800 Depth=3
	s_or_b32 exec_lo, exec_lo, s13
.LBB4_815:                              ;   in Loop: Header=BB4_800 Depth=3
	s_delay_alu instid0(SALU_CYCLE_1) | instskip(SKIP_3) | instid1(VALU_DEP_1)
	s_or_b32 exec_lo, exec_lo, s15
	v_and_b32_e32 v2, 0x108, v30
	s_mov_b32 s13, exec_lo
	;;#ASMSTART
	s_wakeup
	;;#ASMEND
                                        ; implicit-def: $vgpr10_vgpr11
	v_cmpx_ne_u32_e32 0x108, v2
	s_xor_b32 s13, exec_lo, s13
; %bb.816:                              ;   in Loop: Header=BB4_800 Depth=3
	v_dual_mov_b32 v11, v113 :: v_dual_bitop2_b32 v10, 7, v114 bitop3:0x40
                                        ; implicit-def: $vgpr114_vgpr115
; %bb.817:                              ;   in Loop: Header=BB4_800 Depth=3
	s_and_not1_saveexec_b32 s13, s13
	s_cbranch_execz .LBB4_819
; %bb.818:                              ;   in Loop: Header=BB4_800 Depth=3
	v_dual_ashrrev_i32 v13, 31, v12 :: v_dual_bitop2_b32 v10, 7, v114 bitop3:0x40
	v_mov_b32_e32 v11, v113
	s_delay_alu instid0(VALU_DEP_2) | instskip(NEXT) | instid1(VALU_DEP_3)
	v_mad_nc_u64_u32 v[2:3], v10, 24, v[6:7]
	v_lshlrev_b64_e32 v[18:19], 3, v[12:13]
	flat_store_b64 v[2:3], v[18:19] offset:8
.LBB4_819:                              ;   in Loop: Header=BB4_800 Depth=3
	s_wait_xcnt 0x0
	s_or_b32 exec_lo, exec_lo, s13
	v_and_b32_e32 v2, 0x100, v30
	s_mov_b32 s13, -1
	s_mov_b32 s15, exec_lo
                                        ; implicit-def: $vgpr18_vgpr19
	s_delay_alu instid0(VALU_DEP_1)
	v_cmpx_ne_u32_e32 0, v2
	s_cbranch_execz .LBB4_823
; %bb.820:                              ;   in Loop: Header=BB4_800 Depth=3
	v_mad_nc_u64_u32 v[20:21], v10, 24, v[6:7]
	s_mov_b32 s16, exec_lo
                                        ; implicit-def: $vgpr18_vgpr19
	s_delay_alu instid0(VALU_DEP_1)
	v_mad_u32 v21, v11, 24, v21
	flat_load_b32 v2, v[20:21]
	s_wait_loadcnt_dscnt 0x0
	v_cmp_ne_u32_e32 vcc_lo, 1, v2
	s_wait_xcnt 0x0
	v_cmpx_eq_u32_e32 1, v2
	s_cbranch_execz .LBB4_822
; %bb.821:                              ;   in Loop: Header=BB4_800 Depth=3
	flat_load_b32 v2, v[20:21] offset:4 scope:SCOPE_SYS
	s_wait_loadcnt_dscnt 0x0
	v_ashrrev_i32_e32 v3, 31, v2
	s_delay_alu instid0(VALU_DEP_1)
	v_lshrrev_b64 v[18:19], 3, v[2:3]
.LBB4_822:                              ;   in Loop: Header=BB4_800 Depth=3
	s_wait_xcnt 0x0
	s_or_b32 exec_lo, exec_lo, s16
	s_delay_alu instid0(SALU_CYCLE_1)
	s_or_not1_b32 s13, vcc_lo, exec_lo
.LBB4_823:                              ;   in Loop: Header=BB4_800 Depth=3
	s_or_b32 exec_lo, exec_lo, s15
	s_and_saveexec_b32 s15, s13
; %bb.824:                              ;   in Loop: Header=BB4_800 Depth=3
	v_mul_u64_e32 v[18:19], v[10:11], v[34:35]
; %bb.825:                              ;   in Loop: Header=BB4_800 Depth=3
	s_or_b32 exec_lo, exec_lo, s15
	v_cmp_eq_u32_e32 vcc_lo, 0, v112
	v_and_b32_e32 v11, 0x2000, v30
	s_delay_alu instid0(VALU_DEP_3) | instskip(SKIP_2) | instid1(VALU_DEP_1)
	v_lshl_add_u64 v[2:3], v[18:19], 3, v[36:37]
	s_mov_b32 s13, exec_lo
	v_cndmask_b32_e32 v10, 0xd0, v121, vcc_lo
	v_add_nc_u32_e32 v10, v0, v10
	ds_store_b64 v10, v[2:3] offset:584
	v_cmpx_ne_u32_e32 0, v11
	s_cbranch_execz .LBB4_827
; %bb.826:                              ;   in Loop: Header=BB4_800 Depth=3
	ds_load_b64 v[2:3], v0 offset:872
	s_wait_dscnt 0x0
	v_add_nc_u64_e32 v[2:3], 1, v[2:3]
	ds_store_b64 v0, v[2:3] offset:872
.LBB4_827:                              ;   in Loop: Header=BB4_800 Depth=3
	s_or_b32 exec_lo, exec_lo, s13
	v_mov_b64_e32 v[114:115], v[8:9]
.LBB4_828:                              ;   in Loop: Header=BB4_800 Depth=3
	s_or_b32 exec_lo, exec_lo, s14
	s_and_saveexec_b32 s13, s2
	s_cbranch_execz .LBB4_847
; %bb.829:                              ;   in Loop: Header=BB4_800 Depth=3
	s_and_saveexec_b32 s14, s3
	s_delay_alu instid0(SALU_CYCLE_1)
	s_xor_b32 s14, exec_lo, s14
	s_cbranch_execz .LBB4_844
; %bb.830:                              ;   in Loop: Header=BB4_800 Depth=3
	s_and_saveexec_b32 s15, s6
	s_cbranch_execz .LBB4_843
; %bb.831:                              ;   in Loop: Header=BB4_800 Depth=3
	s_mov_b32 s17, exec_lo
	s_mov_b32 s16, exec_lo
	v_mbcnt_lo_u32_b32 v2, s17, 0
	global_wb scope:SCOPE_DEV
	s_wait_storecnt 0x0
	s_wait_loadcnt_dscnt 0x0
	global_inv scope:SCOPE_DEV
	v_cmpx_eq_u32_e32 0, v2
	s_cbranch_execz .LBB4_833
; %bb.832:                              ;   in Loop: Header=BB4_800 Depth=3
	s_bcnt1_i32_b32 s17, s17
	s_delay_alu instid0(SALU_CYCLE_1)
	v_mov_b32_e32 v112, s17
	s_wait_loadcnt 0x0
	ds_add_u64 v2, v[112:113]
	s_trap 2
.LBB4_833:                              ;   in Loop: Header=BB4_800 Depth=3
	s_or_b32 exec_lo, exec_lo, s16
	s_trap 2
	ds_load_b64 v[2:3], v2
	s_wait_dscnt 0x0
	v_add_nc_u64_e32 v[48:49], v[48:49], v[52:53]
	s_mov_b32 s16, exec_lo
	s_delay_alu instid0(VALU_DEP_1)
	v_cmpx_lt_u64_e64 v[2:3], v[48:49]
	s_cbranch_execz .LBB4_842
; %bb.834:                              ;   in Loop: Header=BB4_800 Depth=3
	s_mov_b32 s17, 0
	s_mov_b32 s75, 0
                                        ; implicit-def: $sgpr73
                                        ; implicit-def: $sgpr74
	s_branch .LBB4_836
.LBB4_835:                              ;   in Loop: Header=BB4_836 Depth=4
	s_or_b32 exec_lo, exec_lo, s77
	s_delay_alu instid0(SALU_CYCLE_1) | instskip(NEXT) | instid1(SALU_CYCLE_1)
	s_and_b32 s76, exec_lo, s78
	s_or_b32 s17, s76, s17
	s_and_not1_b32 s73, s73, exec_lo
	s_and_b32 s76, s74, exec_lo
	s_delay_alu instid0(SALU_CYCLE_1)
	s_or_b32 s73, s73, s76
	s_and_not1_b32 exec_lo, exec_lo, s17
	s_cbranch_execz .LBB4_840
.LBB4_836:                              ;   Parent Loop BB4_47 Depth=1
                                        ;     Parent Loop BB4_797 Depth=2
                                        ;       Parent Loop BB4_800 Depth=3
                                        ; =>      This Inner Loop Header: Depth=4
	s_add_co_i32 s75, s75, 1
	s_delay_alu instid0(SALU_CYCLE_1) | instskip(SKIP_1) | instid1(SALU_CYCLE_1)
	s_cmp_lg_u32 s75, 0x2710
	s_cselect_b32 s76, -1, 0
	s_and_b32 vcc_lo, exec_lo, s76
	s_cbranch_vccz .LBB4_838
; %bb.837:                              ;   in Loop: Header=BB4_836 Depth=4
	s_mov_b32 s78, -1
	s_or_b32 s74, s74, exec_lo
	s_and_saveexec_b32 s77, s76
	s_cbranch_execz .LBB4_835
	s_branch .LBB4_839
.LBB4_838:                              ;   in Loop: Header=BB4_836 Depth=4
	s_trap 2
	ds_load_b64 v[2:3], v2
	s_and_not1_b32 s76, s76, exec_lo
	s_mov_b32 s75, 0
	s_wait_loadcnt_dscnt 0x0
	flat_load_b32 v2, v[2:3] scope:SCOPE_SYS
	s_wait_loadcnt_dscnt 0x0
	global_inv scope:SCOPE_SYS
	v_cmp_eq_u32_e32 vcc_lo, 0, v2
	s_and_b32 s77, vcc_lo, exec_lo
	s_delay_alu instid0(SALU_CYCLE_1)
	s_or_b32 s76, s76, s77
	s_mov_b32 s78, -1
	s_or_b32 s74, s74, exec_lo
	s_and_saveexec_b32 s77, s76
	s_cbranch_execz .LBB4_835
.LBB4_839:                              ;   in Loop: Header=BB4_836 Depth=4
	s_sleep 1
	s_trap 2
	ds_load_b64 v[2:3], v2
	s_wait_dscnt 0x0
	s_and_not1_b32 s74, s74, exec_lo
	v_cmp_ge_u64_e32 vcc_lo, v[2:3], v[48:49]
	s_or_not1_b32 s78, vcc_lo, exec_lo
	s_branch .LBB4_835
.LBB4_840:                              ;   in Loop: Header=BB4_800 Depth=3
	s_or_b32 exec_lo, exec_lo, s17
	s_and_saveexec_b32 s17, s73
	s_delay_alu instid0(SALU_CYCLE_1)
	s_xor_b32 s17, exec_lo, s17
	s_cbranch_execz .LBB4_842
; %bb.841:                              ;   in Loop: Header=BB4_800 Depth=3
	ds_store_b32 v2, v111
	s_trap 2
.LBB4_842:                              ;   in Loop: Header=BB4_800 Depth=3
	s_or_b32 exec_lo, exec_lo, s16
	;;#ASMSTART
	s_wakeup
	;;#ASMEND
.LBB4_843:                              ;   in Loop: Header=BB4_800 Depth=3
	s_or_b32 exec_lo, exec_lo, s15
.LBB4_844:                              ;   in Loop: Header=BB4_800 Depth=3
	s_and_not1_saveexec_b32 s14, s14
	s_cbranch_execz .LBB4_846
; %bb.845:                              ;   in Loop: Header=BB4_800 Depth=3
	global_wb scope:SCOPE_DEV
	s_wait_storecnt 0x0
	s_wait_loadcnt_dscnt 0x0
	global_inv scope:SCOPE_DEV
	s_barrier_signal -1
	s_barrier_wait -1
.LBB4_846:                              ;   in Loop: Header=BB4_800 Depth=3
	s_or_b32 exec_lo, exec_lo, s14
.LBB4_847:                              ;   in Loop: Header=BB4_800 Depth=3
	s_delay_alu instid0(SALU_CYCLE_1) | instskip(SKIP_4) | instid1(VALU_DEP_1)
	s_or_b32 exec_lo, exec_lo, s13
	s_trap 2
	ds_load_b32 v8, v2
	v_and_b32_e32 v2, 0x4000, v30
	s_xor_b32 s13, s1, -1
	v_cmp_ne_u32_e32 vcc_lo, 0, v2
	s_and_b32 s14, s13, vcc_lo
	s_delay_alu instid0(SALU_CYCLE_1)
	s_and_saveexec_b32 s13, s14
	s_cbranch_execz .LBB4_866
; %bb.848:                              ;   in Loop: Header=BB4_800 Depth=3
	s_and_saveexec_b32 s14, s3
	s_delay_alu instid0(SALU_CYCLE_1)
	s_xor_b32 s14, exec_lo, s14
	s_cbranch_execz .LBB4_863
; %bb.849:                              ;   in Loop: Header=BB4_800 Depth=3
	s_and_saveexec_b32 s15, s6
	s_cbranch_execz .LBB4_862
; %bb.850:                              ;   in Loop: Header=BB4_800 Depth=3
	s_mov_b32 s17, exec_lo
	s_mov_b32 s16, exec_lo
	v_mbcnt_lo_u32_b32 v2, s17, 0
	global_wb scope:SCOPE_DEV
	s_wait_storecnt 0x0
	s_wait_loadcnt_dscnt 0x0
	global_inv scope:SCOPE_DEV
	v_cmpx_eq_u32_e32 0, v2
	s_cbranch_execz .LBB4_852
; %bb.851:                              ;   in Loop: Header=BB4_800 Depth=3
	s_bcnt1_i32_b32 s17, s17
	s_delay_alu instid0(SALU_CYCLE_1)
	v_mov_b32_e32 v112, s17
	s_wait_loadcnt 0x0
	ds_add_u64 v2, v[112:113]
	s_trap 2
.LBB4_852:                              ;   in Loop: Header=BB4_800 Depth=3
	s_or_b32 exec_lo, exec_lo, s16
	s_trap 2
	ds_load_b64 v[2:3], v2
	s_wait_dscnt 0x0
	v_add_nc_u64_e32 v[48:49], v[48:49], v[52:53]
	s_mov_b32 s16, exec_lo
	s_delay_alu instid0(VALU_DEP_1)
	v_cmpx_lt_u64_e64 v[2:3], v[48:49]
	s_cbranch_execz .LBB4_861
; %bb.853:                              ;   in Loop: Header=BB4_800 Depth=3
	s_mov_b32 s17, 0
	s_mov_b32 s75, 0
                                        ; implicit-def: $sgpr73
                                        ; implicit-def: $sgpr74
	s_branch .LBB4_855
.LBB4_854:                              ;   in Loop: Header=BB4_855 Depth=4
	s_or_b32 exec_lo, exec_lo, s77
	s_delay_alu instid0(SALU_CYCLE_1) | instskip(NEXT) | instid1(SALU_CYCLE_1)
	s_and_b32 s76, exec_lo, s78
	s_or_b32 s17, s76, s17
	s_and_not1_b32 s73, s73, exec_lo
	s_and_b32 s76, s74, exec_lo
	s_delay_alu instid0(SALU_CYCLE_1)
	s_or_b32 s73, s73, s76
	s_and_not1_b32 exec_lo, exec_lo, s17
	s_cbranch_execz .LBB4_859
.LBB4_855:                              ;   Parent Loop BB4_47 Depth=1
                                        ;     Parent Loop BB4_797 Depth=2
                                        ;       Parent Loop BB4_800 Depth=3
                                        ; =>      This Inner Loop Header: Depth=4
	s_add_co_i32 s75, s75, 1
	s_delay_alu instid0(SALU_CYCLE_1) | instskip(SKIP_1) | instid1(SALU_CYCLE_1)
	s_cmp_lg_u32 s75, 0x2710
	s_cselect_b32 s76, -1, 0
	s_and_b32 vcc_lo, exec_lo, s76
	s_cbranch_vccz .LBB4_857
; %bb.856:                              ;   in Loop: Header=BB4_855 Depth=4
	s_mov_b32 s78, -1
	s_or_b32 s74, s74, exec_lo
	s_and_saveexec_b32 s77, s76
	s_cbranch_execz .LBB4_854
	s_branch .LBB4_858
.LBB4_857:                              ;   in Loop: Header=BB4_855 Depth=4
	s_trap 2
	ds_load_b64 v[2:3], v2
	s_and_not1_b32 s76, s76, exec_lo
	s_mov_b32 s75, 0
	s_wait_loadcnt_dscnt 0x0
	flat_load_b32 v2, v[2:3] scope:SCOPE_SYS
	s_wait_loadcnt_dscnt 0x0
	global_inv scope:SCOPE_SYS
	v_cmp_eq_u32_e32 vcc_lo, 0, v2
	s_and_b32 s77, vcc_lo, exec_lo
	s_delay_alu instid0(SALU_CYCLE_1)
	s_or_b32 s76, s76, s77
	s_mov_b32 s78, -1
	s_or_b32 s74, s74, exec_lo
	s_and_saveexec_b32 s77, s76
	s_cbranch_execz .LBB4_854
.LBB4_858:                              ;   in Loop: Header=BB4_855 Depth=4
	s_sleep 1
	s_trap 2
	ds_load_b64 v[2:3], v2
	s_wait_dscnt 0x0
	s_and_not1_b32 s74, s74, exec_lo
	v_cmp_ge_u64_e32 vcc_lo, v[2:3], v[48:49]
	s_or_not1_b32 s78, vcc_lo, exec_lo
	s_branch .LBB4_854
.LBB4_859:                              ;   in Loop: Header=BB4_800 Depth=3
	s_or_b32 exec_lo, exec_lo, s17
	s_and_saveexec_b32 s17, s73
	s_delay_alu instid0(SALU_CYCLE_1)
	s_xor_b32 s17, exec_lo, s17
	s_cbranch_execz .LBB4_861
; %bb.860:                              ;   in Loop: Header=BB4_800 Depth=3
	ds_store_b32 v2, v111
	s_trap 2
.LBB4_861:                              ;   in Loop: Header=BB4_800 Depth=3
	s_or_b32 exec_lo, exec_lo, s16
	;;#ASMSTART
	s_wakeup
	;;#ASMEND
.LBB4_862:                              ;   in Loop: Header=BB4_800 Depth=3
	s_or_b32 exec_lo, exec_lo, s15
.LBB4_863:                              ;   in Loop: Header=BB4_800 Depth=3
	s_and_not1_saveexec_b32 s14, s14
	s_cbranch_execz .LBB4_865
; %bb.864:                              ;   in Loop: Header=BB4_800 Depth=3
	global_wb scope:SCOPE_DEV
	s_wait_storecnt 0x0
	s_wait_loadcnt_dscnt 0x0
	global_inv scope:SCOPE_DEV
	s_barrier_signal -1
	s_barrier_wait -1
.LBB4_865:                              ;   in Loop: Header=BB4_800 Depth=3
	s_or_b32 exec_lo, exec_lo, s14
.LBB4_866:                              ;   in Loop: Header=BB4_800 Depth=3
	s_delay_alu instid0(SALU_CYCLE_1)
	s_or_b32 exec_lo, exec_lo, s13
	s_trap 2
	ds_load_b64 v[18:19], v2
	s_wait_dscnt 0x0
	v_cmp_eq_u64_e32 vcc_lo, 0, v[18:19]
	s_cbranch_vccnz .LBB4_875
; %bb.867:                              ;   in Loop: Header=BB4_800 Depth=3
	s_trap 2
	ds_load_b64 v[20:21], v2
	s_wait_dscnt 0x0
	v_cmp_eq_u64_e32 vcc_lo, 0, v[20:21]
	s_cbranch_vccnz .LBB4_875
; %bb.868:                              ;   in Loop: Header=BB4_800 Depth=3
	s_trap 2
	ds_load_b64 v[22:23], v3
	v_cmp_eq_u32_e32 vcc_lo, 0, v8
	s_mov_b32 s13, -1
	v_cndmask_b32_e32 v2, 0, v12, vcc_lo
	s_delay_alu instid0(VALU_DEP_1)
	v_lshlrev_b32_e32 v13, 3, v2
	s_wait_dscnt 0x0
	v_cmp_ne_u64_e32 vcc_lo, 0, v[22:23]
	s_cbranch_vccz .LBB4_904
; %bb.869:                              ;   in Loop: Header=BB4_800 Depth=3
	s_and_saveexec_b32 s14, s10
	s_cbranch_execz .LBB4_871
; %bb.870:                              ;   in Loop: Header=BB4_800 Depth=3
	ds_load_b32 v3, v0 offset:720
	s_wait_dscnt 0x0
	v_and_b32_e32 v3, 15, v3
	s_delay_alu instid0(VALU_DEP_1)
	v_cmp_eq_u32_e32 vcc_lo, 0, v3
	s_or_not1_b32 s13, vcc_lo, exec_lo
.LBB4_871:                              ;   in Loop: Header=BB4_800 Depth=3
	s_or_b32 exec_lo, exec_lo, s14
	s_and_saveexec_b32 s14, s11
	s_cbranch_execz .LBB4_873
; %bb.872:                              ;   in Loop: Header=BB4_800 Depth=3
	ds_load_b32 v3, v0 offset:784
	s_wait_dscnt 0x0
	v_and_b32_e32 v3, 15, v3
	s_delay_alu instid0(VALU_DEP_1) | instskip(SKIP_3) | instid1(SALU_CYCLE_1)
	v_cmp_eq_u32_e32 vcc_lo, 0, v3
	s_and_b32 s15, s13, vcc_lo
	s_and_not1_b32 s13, s13, exec_lo
	s_and_b32 s15, s15, exec_lo
	s_or_b32 s13, s13, s15
.LBB4_873:                              ;   in Loop: Header=BB4_800 Depth=3
	s_or_b32 exec_lo, exec_lo, s14
	s_xor_b32 s13, s13, -1
	v_dual_mov_b32 v42, 0 :: v_dual_mov_b32 v43, v13
	v_cndmask_b32_e64 v3, 0, 1, s13
	v_mov_b32_e32 v44, v0
	s_mov_b32 s13, -1
	s_delay_alu instid0(VALU_DEP_2)
	v_cmp_ne_u32_e32 vcc_lo, 0, v3
	s_cbranch_vccz .LBB4_880
; %bb.874:                              ;   in Loop: Header=BB4_800 Depth=3
	s_and_saveexec_b32 s15, s13
	s_cbranch_execnz .LBB4_893
	s_branch .LBB4_903
.LBB4_875:                              ;   in Loop: Header=BB4_800 Depth=3
	s_mov_b32 s13, 0
	s_and_saveexec_b32 s14, s2
	s_cbranch_execnz .LBB4_932
.LBB4_876:                              ;   in Loop: Header=BB4_800 Depth=3
	s_or_b32 exec_lo, exec_lo, s14
                                        ; implicit-def: $vgpr2
	s_and_saveexec_b32 s14, s12
	s_delay_alu instid0(SALU_CYCLE_1)
	s_xor_b32 s14, exec_lo, s14
	s_cbranch_execz .LBB4_950
.LBB4_877:                              ;   in Loop: Header=BB4_800 Depth=3
	v_and_b32_e32 v2, 16, v30
	s_delay_alu instid0(VALU_DEP_1) | instskip(SKIP_2) | instid1(SALU_CYCLE_1)
	v_cmp_ne_u32_e32 vcc_lo, 0, v2
	v_and_b32_e32 v2, 16, v30
	s_and_b32 s15, vcc_lo, s13
	s_and_saveexec_b32 s13, s15
	s_cbranch_execz .LBB4_879
; %bb.878:                              ;   in Loop: Header=BB4_800 Depth=3
	v_mov_b32_e32 v2, 1
	global_wb scope:SCOPE_SYS
	s_wait_storecnt 0x0
	s_wait_loadcnt_dscnt 0x0
	global_inv scope:SCOPE_SYS
.LBB4_879:                              ;   in Loop: Header=BB4_800 Depth=3
	s_or_b32 exec_lo, exec_lo, s13
	s_and_not1_saveexec_b32 s13, s14
	s_cbranch_execz .LBB4_969
	s_branch .LBB4_951
.LBB4_880:                              ;   in Loop: Header=BB4_800 Depth=3
	v_ashrrev_i32_e32 v3, 31, v13
	s_mov_b32 s13, exec_lo
	s_delay_alu instid0(VALU_DEP_1) | instskip(NEXT) | instid1(VALU_DEP_1)
	v_lshrrev_b32_e32 v3, 22, v3
	v_add_nc_u32_e32 v3, v13, v3
	s_delay_alu instid0(VALU_DEP_1) | instskip(NEXT) | instid1(VALU_DEP_1)
	v_ashrrev_i32_e32 v15, 10, v3
	v_sub_nc_u32_e32 v45, v15, v110
	s_delay_alu instid0(VALU_DEP_1)
	v_cmpx_lt_i32_e32 0, v45
	s_cbranch_execz .LBB4_884
; %bb.881:                              ;   in Loop: Header=BB4_800 Depth=3
	v_add_nc_u64_e32 v[8:9], v[18:19], v[82:83]
	v_add_nc_u64_e32 v[10:11], v[20:21], v[82:83]
	;; [unrolled: 1-line block ×3, first 2 shown]
	s_mov_b32 s14, 0
.LBB4_882:                              ;   Parent Loop BB4_47 Depth=1
                                        ;     Parent Loop BB4_797 Depth=2
                                        ;       Parent Loop BB4_800 Depth=3
                                        ; =>      This Inner Loop Header: Depth=4
	s_clause 0x1
	global_load_b128 v[56:59], v[8:9], off th:TH_LOAD_NT
	global_load_b128 v[60:63], v[8:9], off offset:512 th:TH_LOAD_NT
	v_sub_nc_u32_e32 v45, v45, v52
	s_wait_xcnt 0x0
	v_add_nc_u64_e32 v[8:9], v[8:9], v[84:85]
	s_wait_loadcnt 0x1
	global_store_b128 v[10:11], v[56:59], off th:TH_STORE_NT
	s_wait_loadcnt 0x0
	global_store_b128 v[10:11], v[60:63], off offset:512 th:TH_STORE_NT
	s_clause 0x1
	global_store_b128 v[40:41], v[56:59], off th:TH_STORE_NT
	global_store_b128 v[40:41], v[60:63], off offset:512 th:TH_STORE_NT
	v_cmp_gt_i32_e32 vcc_lo, 1, v45
	s_wait_xcnt 0x2
	v_add_nc_u64_e32 v[10:11], v[10:11], v[84:85]
	s_wait_xcnt 0x0
	v_add_nc_u64_e32 v[40:41], v[40:41], v[84:85]
	s_or_b32 s14, vcc_lo, s14
	s_delay_alu instid0(SALU_CYCLE_1)
	s_and_not1_b32 exec_lo, exec_lo, s14
	s_cbranch_execnz .LBB4_882
; %bb.883:                              ;   in Loop: Header=BB4_800 Depth=3
	s_or_b32 exec_lo, exec_lo, s14
.LBB4_884:                              ;   in Loop: Header=BB4_800 Depth=3
	s_delay_alu instid0(SALU_CYCLE_1) | instskip(SKIP_3) | instid1(VALU_DEP_1)
	s_or_b32 exec_lo, exec_lo, s13
	v_dual_mov_b32 v42, 0 :: v_dual_lshlrev_b32 v15, 10, v15
	s_mov_b32 s13, 0
	s_mov_b32 s73, exec_lo
                                        ; implicit-def: $vgpr43
                                        ; implicit-def: $vgpr44
	v_cmpx_ne_u32_e64 v13, v15
	s_cbranch_execz .LBB4_892
; %bb.885:                              ;   in Loop: Header=BB4_800 Depth=3
	v_dual_lshlrev_b32 v3, 5, v45 :: v_dual_sub_nc_u32 v9, v13, v15
	s_mov_b32 s74, exec_lo
	s_delay_alu instid0(VALU_DEP_1) | instskip(NEXT) | instid1(VALU_DEP_1)
	v_dual_sub_nc_u32 v3, v109, v3 :: v_dual_ashrrev_i32 v10, 31, v9
	v_dual_ashrrev_i32 v8, 31, v3 :: v_dual_lshrrev_b32 v10, 23, v10
	s_delay_alu instid0(VALU_DEP_1) | instskip(NEXT) | instid1(VALU_DEP_1)
	v_lshrrev_b32_e32 v8, 27, v8
	v_add_nc_u32_e32 v8, v3, v8
	s_delay_alu instid0(VALU_DEP_1) | instskip(NEXT) | instid1(VALU_DEP_1)
	v_and_b32_e32 v11, 0xffffffe0, v8
	v_dual_add_nc_u32 v10, v9, v10 :: v_dual_sub_nc_u32 v47, v3, v11
	s_delay_alu instid0(VALU_DEP_1) | instskip(SKIP_1) | instid1(VALU_DEP_2)
	v_and_b32_e32 v56, 0xfffffe00, v10
	v_dual_ashrrev_i32 v3, 5, v8 :: v_dual_ashrrev_i32 v10, 9, v10
	v_dual_lshlrev_b32 v8, 4, v47 :: v_dual_sub_nc_u32 v57, v9, v56
	s_delay_alu instid0(VALU_DEP_1) | instskip(NEXT) | instid1(VALU_DEP_2)
	v_lshl_add_u32 v8, v3, 9, v8
	v_cmp_lt_i32_e64 s13, 15, v57
	s_delay_alu instid0(VALU_DEP_1) | instskip(NEXT) | instid1(VALU_DEP_1)
	v_add_co_ci_u32_e64 v10, null, 0, v10, s13
	v_dual_sub_nc_u32 v59, v9, v8 :: v_dual_sub_nc_u32 v58, v10, v3
	s_delay_alu instid0(VALU_DEP_1)
	v_cmpx_lt_i32_e32 15, v59
	s_cbranch_execz .LBB4_891
; %bb.886:                              ;   in Loop: Header=BB4_800 Depth=3
	v_add_nc_u32_e32 v8, v8, v15
	s_mov_b32 s75, 0
	s_delay_alu instid0(VALU_DEP_1) | instskip(NEXT) | instid1(VALU_DEP_1)
	v_ashrrev_i32_e32 v9, 31, v8
	v_add_nc_u64_e32 v[40:41], v[8:9], v[18:19]
	v_add_nc_u64_e32 v[42:43], v[8:9], v[20:21]
	;; [unrolled: 1-line block ×3, first 2 shown]
.LBB4_887:                              ;   Parent Loop BB4_47 Depth=1
                                        ;     Parent Loop BB4_797 Depth=2
                                        ;       Parent Loop BB4_800 Depth=3
                                        ; =>      This Loop Header: Depth=4
                                        ;           Child Loop BB4_888 Depth 5
	global_load_b128 v[8:11], v[40:41], off th:TH_LOAD_NT
	s_mov_b64 s[16:17], 0
	s_mov_b32 s76, -1
.LBB4_888:                              ;   Parent Loop BB4_47 Depth=1
                                        ;     Parent Loop BB4_797 Depth=2
                                        ;       Parent Loop BB4_800 Depth=3
                                        ;         Parent Loop BB4_887 Depth=4
                                        ; =>        This Inner Loop Header: Depth=5
	s_cmp_eq_u32 s16, 1
	s_cselect_b32 vcc_lo, -1, 0
	s_cmp_eq_u32 s16, 0
	s_wait_xcnt 0x0
	v_dual_cndmask_b32 v29, v43, v45 :: v_dual_cndmask_b32 v28, v42, v44
	s_cselect_b32 s14, -1, 0
	s_and_b32 s15, exec_lo, s76
	s_mov_b64 s[16:17], 1
	s_mov_b32 s76, 0
	v_add_nc_u64_e32 v[60:61], 0x200, v[28:29]
	s_wait_loadcnt 0x0
	global_store_b128 v[28:29], v[8:11], off th:TH_STORE_NT
	v_dual_cndmask_b32 v45, v45, v61 :: v_dual_cndmask_b32 v44, v44, v60
	v_dual_cndmask_b32 v43, v43, v61, s14 :: v_dual_cndmask_b32 v42, v42, v60, s14
	s_mov_b32 vcc_lo, s15
	s_cbranch_vccnz .LBB4_888
; %bb.889:                              ;   in Loop: Header=BB4_887 Depth=4
	v_dual_sub_nc_u32 v59, v59, v70 :: v_dual_sub_nc_u32 v58, v58, v52
	s_delay_alu instid0(VALU_DEP_2)
	v_add_nc_u64_e32 v[42:43], v[42:43], v[96:97]
	v_add_nc_u64_e32 v[44:45], v[44:45], v[96:97]
	s_wait_xcnt 0x1
	v_add_nc_u64_e32 v[40:41], v[100:101], v[40:41]
	v_cmp_gt_i32_e32 vcc_lo, 16, v59
	s_or_b32 s75, vcc_lo, s75
	s_wait_xcnt 0x0
	s_and_not1_b32 exec_lo, exec_lo, s75
	s_cbranch_execnz .LBB4_887
; %bb.890:                              ;   in Loop: Header=BB4_800 Depth=3
	s_or_b32 exec_lo, exec_lo, s75
.LBB4_891:                              ;   in Loop: Header=BB4_800 Depth=3
	s_delay_alu instid0(SALU_CYCLE_1) | instskip(NEXT) | instid1(VALU_DEP_2)
	s_or_b32 exec_lo, exec_lo, s74
	v_cmp_lt_i32_e32 vcc_lo, 0, v58
	v_dual_cndmask_b32 v9, 0, v52, vcc_lo :: v_dual_bitop2_b32 v3, 8, v13 bitop3:0x40
	s_delay_alu instid0(VALU_DEP_1) | instskip(NEXT) | instid1(VALU_DEP_1)
	v_dual_sub_nc_u32 v8, v57, v3 :: v_dual_cndmask_b32 v43, v57, v3, s13
	v_dual_cndmask_b32 v3, 0, v8, s13 :: v_dual_sub_nc_u32 v8, v9, v58
	s_delay_alu instid0(VALU_DEP_2) | instskip(NEXT) | instid1(VALU_DEP_2)
	v_cmp_ne_u32_e32 vcc_lo, 0, v43
	v_add3_u32 v42, v56, v15, v3
	s_delay_alu instid0(VALU_DEP_3)
	v_lshl_add_u32 v44, v8, 5, v47
	s_and_b32 s13, vcc_lo, exec_lo
.LBB4_892:                              ;   in Loop: Header=BB4_800 Depth=3
	s_or_b32 exec_lo, exec_lo, s73
	s_and_saveexec_b32 s15, s13
	s_cbranch_execz .LBB4_903
.LBB4_893:                              ;   in Loop: Header=BB4_800 Depth=3
	v_dual_ashrrev_i32 v3, 31, v44 :: v_dual_ashrrev_i32 v8, 31, v43
	s_mov_b32 s13, exec_lo
	s_delay_alu instid0(VALU_DEP_1) | instskip(NEXT) | instid1(VALU_DEP_1)
	v_dual_lshrrev_b32 v3, 27, v3 :: v_dual_lshrrev_b32 v9, 23, v8
	v_dual_add_nc_u32 v8, v44, v3 :: v_dual_add_nc_u32 v3, v43, v9
	s_delay_alu instid0(VALU_DEP_1) | instskip(NEXT) | instid1(VALU_DEP_1)
	v_dual_ashrrev_i32 v15, 5, v8 :: v_dual_ashrrev_i32 v47, 9, v3
	v_sub_nc_u32_e32 v45, v47, v15
	s_delay_alu instid0(VALU_DEP_1)
	v_cmpx_lt_i32_e32 0, v45
	s_cbranch_execz .LBB4_897
; %bb.894:                              ;   in Loop: Header=BB4_800 Depth=3
	v_and_b32_e32 v3, 0x1fffffe0, v8
	v_lshlrev_b32_e32 v8, 9, v15
	s_mov_b32 s14, 0
	s_delay_alu instid0(VALU_DEP_2) | instskip(NEXT) | instid1(VALU_DEP_1)
	v_sub_nc_u32_e32 v3, v44, v3
	v_lshlrev_b32_e32 v3, 3, v3
	s_delay_alu instid0(VALU_DEP_1) | instskip(NEXT) | instid1(VALU_DEP_1)
	v_add3_u32 v28, v3, v42, v8
	v_ashrrev_i32_e32 v29, 31, v28
	s_delay_alu instid0(VALU_DEP_1)
	v_add_nc_u64_e32 v[8:9], v[28:29], v[18:19]
	v_add_nc_u64_e32 v[10:11], v[28:29], v[20:21]
	;; [unrolled: 1-line block ×3, first 2 shown]
.LBB4_895:                              ;   Parent Loop BB4_47 Depth=1
                                        ;     Parent Loop BB4_797 Depth=2
                                        ;       Parent Loop BB4_800 Depth=3
                                        ; =>      This Inner Loop Header: Depth=4
	s_clause 0x1
	flat_load_b64 v[28:29], v[8:9] th:TH_LOAD_NT
	flat_load_b64 v[56:57], v[8:9] offset:256 th:TH_LOAD_NT
	v_sub_nc_u32_e32 v45, v45, v52
	s_wait_xcnt 0x0
	v_add_nc_u64_e32 v[8:9], v[8:9], v[70:71]
	s_wait_loadcnt_dscnt 0x101
	flat_store_b64 v[10:11], v[28:29] th:TH_STORE_NT
	s_wait_loadcnt_dscnt 0x1
	flat_store_b64 v[10:11], v[56:57] offset:256 th:TH_STORE_NT
	s_clause 0x1
	flat_store_b64 v[40:41], v[28:29] th:TH_STORE_NT
	flat_store_b64 v[40:41], v[56:57] offset:256 th:TH_STORE_NT
	v_cmp_gt_i32_e32 vcc_lo, 1, v45
	s_wait_xcnt 0x2
	v_add_nc_u64_e32 v[10:11], v[10:11], v[70:71]
	s_wait_xcnt 0x0
	v_add_nc_u64_e32 v[40:41], v[40:41], v[70:71]
	s_or_b32 s14, vcc_lo, s14
	s_delay_alu instid0(SALU_CYCLE_1)
	s_and_not1_b32 exec_lo, exec_lo, s14
	s_cbranch_execnz .LBB4_895
; %bb.896:                              ;   in Loop: Header=BB4_800 Depth=3
	s_or_b32 exec_lo, exec_lo, s14
.LBB4_897:                              ;   in Loop: Header=BB4_800 Depth=3
	s_delay_alu instid0(SALU_CYCLE_1) | instskip(SKIP_1) | instid1(VALU_DEP_1)
	s_or_b32 exec_lo, exec_lo, s13
	v_lshlrev_b32_e32 v8, 9, v47
	v_cmp_ne_u32_e32 vcc_lo, v43, v8
	s_and_b32 exec_lo, exec_lo, vcc_lo
	s_cbranch_execz .LBB4_903
; %bb.898:                              ;   in Loop: Header=BB4_800 Depth=3
	v_dual_lshlrev_b32 v3, 5, v15 :: v_dual_lshlrev_b32 v9, 5, v45
	s_delay_alu instid0(VALU_DEP_1) | instskip(NEXT) | instid1(VALU_DEP_1)
	v_sub_nc_u32_e32 v3, v44, v3
	v_sub_nc_u32_e32 v3, v3, v9
	s_delay_alu instid0(VALU_DEP_1) | instskip(NEXT) | instid1(VALU_DEP_1)
	v_ashrrev_i32_e32 v9, 31, v3
	v_lshrrev_b32_e32 v9, 27, v9
	s_delay_alu instid0(VALU_DEP_1) | instskip(NEXT) | instid1(VALU_DEP_1)
	v_add_nc_u32_e32 v9, v3, v9
	v_and_b32_e32 v10, 0x1fffffe0, v9
	s_delay_alu instid0(VALU_DEP_1) | instskip(NEXT) | instid1(VALU_DEP_1)
	v_dual_lshlrev_b32 v9, 3, v9 :: v_dual_sub_nc_u32 v3, v3, v10
	v_and_b32_e32 v9, 0xffffff00, v9
	s_delay_alu instid0(VALU_DEP_2) | instskip(NEXT) | instid1(VALU_DEP_1)
	v_lshlrev_b32_e32 v3, 3, v3
	v_add3_u32 v8, v9, v3, v8
	s_delay_alu instid0(VALU_DEP_1) | instskip(NEXT) | instid1(VALU_DEP_1)
	v_sub_nc_u32_e32 v15, v43, v8
	v_cmp_lt_i32_e32 vcc_lo, 7, v15
	s_and_b32 exec_lo, exec_lo, vcc_lo
	s_cbranch_execz .LBB4_903
; %bb.899:                              ;   in Loop: Header=BB4_800 Depth=3
	v_add_nc_u32_e32 v28, v8, v42
	s_mov_b32 s73, 0
	s_delay_alu instid0(VALU_DEP_1) | instskip(NEXT) | instid1(VALU_DEP_1)
	v_ashrrev_i32_e32 v29, 31, v28
	v_add_nc_u64_e32 v[8:9], v[28:29], v[18:19]
	v_add_nc_u64_e32 v[10:11], v[28:29], v[20:21]
	;; [unrolled: 1-line block ×3, first 2 shown]
.LBB4_900:                              ;   Parent Loop BB4_47 Depth=1
                                        ;     Parent Loop BB4_797 Depth=2
                                        ;       Parent Loop BB4_800 Depth=3
                                        ; =>      This Loop Header: Depth=4
                                        ;           Child Loop BB4_901 Depth 5
	flat_load_b64 v[40:41], v[8:9] th:TH_LOAD_NT
	s_mov_b64 s[16:17], 0
	s_mov_b32 s74, -1
.LBB4_901:                              ;   Parent Loop BB4_47 Depth=1
                                        ;     Parent Loop BB4_797 Depth=2
                                        ;       Parent Loop BB4_800 Depth=3
                                        ;         Parent Loop BB4_900 Depth=4
                                        ; =>        This Inner Loop Header: Depth=5
	s_cmp_eq_u32 s16, 1
	s_cselect_b32 vcc_lo, -1, 0
	s_cmp_eq_u32 s16, 0
	s_wait_xcnt 0x0
	v_dual_cndmask_b32 v29, v11, v23 :: v_dual_cndmask_b32 v28, v10, v22
	s_cselect_b32 s13, -1, 0
	s_and_b32 s14, exec_lo, s74
	s_mov_b64 s[16:17], 1
	s_mov_b32 s74, 0
	v_add_nc_u64_e32 v[42:43], 0x100, v[28:29]
	s_wait_loadcnt_dscnt 0x0
	flat_store_b64 v[28:29], v[40:41] th:TH_STORE_NT
	v_dual_cndmask_b32 v23, v23, v43 :: v_dual_cndmask_b32 v22, v22, v42
	v_dual_cndmask_b32 v11, v11, v43, s13 :: v_dual_cndmask_b32 v10, v10, v42, s13
	s_mov_b32 vcc_lo, s14
	s_cbranch_vccnz .LBB4_901
; %bb.902:                              ;   in Loop: Header=BB4_900 Depth=4
	v_sub_nc_u32_e32 v15, v15, v80
	s_delay_alu instid0(VALU_DEP_2)
	v_add_nc_u64_e32 v[10:11], v[10:11], v[98:99]
	v_add_nc_u64_e32 v[22:23], v[22:23], v[98:99]
	s_wait_xcnt 0x1
	v_add_nc_u64_e32 v[8:9], v[102:103], v[8:9]
	v_cmp_gt_i32_e32 vcc_lo, 8, v15
	s_or_b32 s73, vcc_lo, s73
	s_wait_xcnt 0x0
	s_and_not1_b32 exec_lo, exec_lo, s73
	s_cbranch_execnz .LBB4_900
.LBB4_903:                              ;   in Loop: Header=BB4_800 Depth=3
	s_or_b32 exec_lo, exec_lo, s15
	s_mov_b32 s13, 0
.LBB4_904:                              ;   in Loop: Header=BB4_800 Depth=3
	s_delay_alu instid0(SALU_CYCLE_1)
	s_and_b32 vcc_lo, exec_lo, s13
	s_cbranch_vccz .LBB4_931
; %bb.905:                              ;   in Loop: Header=BB4_800 Depth=3
	s_mov_b32 s13, -1
	s_and_saveexec_b32 s14, s10
	s_cbranch_execz .LBB4_907
; %bb.906:                              ;   in Loop: Header=BB4_800 Depth=3
	ds_load_b32 v3, v0 offset:720
	s_wait_dscnt 0x0
	v_and_b32_e32 v3, 15, v3
	s_delay_alu instid0(VALU_DEP_1)
	v_cmp_eq_u32_e32 vcc_lo, 0, v3
	s_or_not1_b32 s13, vcc_lo, exec_lo
.LBB4_907:                              ;   in Loop: Header=BB4_800 Depth=3
	s_or_b32 exec_lo, exec_lo, s14
	s_and_saveexec_b32 s14, s7
	s_cbranch_execz .LBB4_909
; %bb.908:                              ;   in Loop: Header=BB4_800 Depth=3
	ds_load_b32 v3, v0 offset:784
	s_wait_dscnt 0x0
	v_and_b32_e32 v3, 15, v3
	s_delay_alu instid0(VALU_DEP_1) | instskip(SKIP_3) | instid1(SALU_CYCLE_1)
	v_cmp_eq_u32_e32 vcc_lo, 0, v3
	s_and_b32 s15, s13, vcc_lo
	s_and_not1_b32 s13, s13, exec_lo
	s_and_b32 s15, s15, exec_lo
	s_or_b32 s13, s13, s15
.LBB4_909:                              ;   in Loop: Header=BB4_800 Depth=3
	s_or_b32 exec_lo, exec_lo, s14
	s_xor_b32 s13, s13, -1
	v_mov_b32_e32 v10, 0
	v_cndmask_b32_e64 v3, 0, 1, s13
	s_mov_b32 s15, -1
	s_delay_alu instid0(VALU_DEP_1)
	v_cmp_ne_u32_e32 vcc_lo, 0, v3
	s_cbranch_vccz .LBB4_911
; %bb.910:                              ;   in Loop: Header=BB4_800 Depth=3
	v_mov_b32_e32 v11, v0
	s_and_saveexec_b32 s13, s15
	s_cbranch_execnz .LBB4_922
	s_branch .LBB4_930
.LBB4_911:                              ;   in Loop: Header=BB4_800 Depth=3
	v_ashrrev_i32_e32 v3, 31, v13
	s_mov_b32 s13, exec_lo
	s_delay_alu instid0(VALU_DEP_1) | instskip(NEXT) | instid1(VALU_DEP_1)
	v_lshrrev_b32_e32 v3, 21, v3
	v_add_nc_u32_e32 v3, v13, v3
	s_delay_alu instid0(VALU_DEP_1) | instskip(NEXT) | instid1(VALU_DEP_1)
	v_ashrrev_i32_e32 v15, 11, v3
	v_sub_nc_u32_e32 v22, v15, v110
	s_delay_alu instid0(VALU_DEP_1)
	v_cmpx_lt_i32_e32 0, v22
	s_cbranch_execz .LBB4_915
; %bb.912:                              ;   in Loop: Header=BB4_800 Depth=3
	v_mov_b64_e32 v[8:9], v[20:21]
	v_mov_b64_e32 v[10:11], v[18:19]
	s_mov_b32 s14, 0
.LBB4_913:                              ;   Parent Loop BB4_47 Depth=1
                                        ;     Parent Loop BB4_797 Depth=2
                                        ;       Parent Loop BB4_800 Depth=3
                                        ; =>      This Inner Loop Header: Depth=4
	s_delay_alu instid0(VALU_DEP_1)
	v_add_nc_u64_e32 v[28:29], v[86:87], v[10:11]
	v_sub_nc_u32_e32 v22, v22, v52
	v_add_nc_u64_e32 v[10:11], v[10:11], v[68:69]
	s_clause 0x3
	global_load_b128 v[40:43], v[28:29], off th:TH_LOAD_NT
	global_load_b128 v[56:59], v[28:29], off offset:512 th:TH_LOAD_NT
	global_load_b128 v[60:63], v[28:29], off offset:1024 th:TH_LOAD_NT
	;; [unrolled: 1-line block ×3, first 2 shown]
	s_wait_xcnt 0x0
	v_add_nc_u64_e32 v[28:29], v[86:87], v[8:9]
	v_cmp_gt_i32_e32 vcc_lo, 1, v22
	v_add_nc_u64_e32 v[8:9], v[8:9], v[68:69]
	s_wait_loadcnt 0x3
	global_store_b128 v[28:29], v[40:43], off th:TH_STORE_NT
	s_wait_loadcnt 0x2
	global_store_b128 v[28:29], v[56:59], off offset:512 th:TH_STORE_NT
	s_wait_loadcnt 0x1
	global_store_b128 v[28:29], v[60:63], off offset:1024 th:TH_STORE_NT
	;; [unrolled: 2-line block ×3, first 2 shown]
	s_or_b32 s14, vcc_lo, s14
	s_wait_xcnt 0x0
	s_and_not1_b32 exec_lo, exec_lo, s14
	s_cbranch_execnz .LBB4_913
; %bb.914:                              ;   in Loop: Header=BB4_800 Depth=3
	s_or_b32 exec_lo, exec_lo, s14
.LBB4_915:                              ;   in Loop: Header=BB4_800 Depth=3
	s_delay_alu instid0(SALU_CYCLE_1) | instskip(SKIP_3) | instid1(VALU_DEP_1)
	s_or_b32 exec_lo, exec_lo, s13
	v_dual_mov_b32 v10, 0 :: v_dual_lshlrev_b32 v15, 11, v15
	s_mov_b32 s15, 0
	s_mov_b32 s14, exec_lo
                                        ; implicit-def: $vgpr11
	v_cmpx_ne_u32_e64 v13, v15
	s_cbranch_execz .LBB4_921
; %bb.916:                              ;   in Loop: Header=BB4_800 Depth=3
	v_dual_lshlrev_b32 v3, 5, v22 :: v_dual_sub_nc_u32 v9, v13, v15
	s_mov_b32 s15, exec_lo
	s_delay_alu instid0(VALU_DEP_1) | instskip(NEXT) | instid1(VALU_DEP_1)
	v_dual_sub_nc_u32 v3, v109, v3 :: v_dual_ashrrev_i32 v10, 31, v9
	v_dual_ashrrev_i32 v8, 31, v3 :: v_dual_lshrrev_b32 v10, 23, v10
	s_delay_alu instid0(VALU_DEP_1) | instskip(NEXT) | instid1(VALU_DEP_1)
	v_lshrrev_b32_e32 v8, 27, v8
	v_add_nc_u32_e32 v8, v3, v8
	s_delay_alu instid0(VALU_DEP_1) | instskip(NEXT) | instid1(VALU_DEP_1)
	v_and_b32_e32 v11, 0xffffffe0, v8
	v_dual_add_nc_u32 v23, v9, v10 :: v_dual_sub_nc_u32 v11, v3, v11
	s_delay_alu instid0(VALU_DEP_1) | instskip(SKIP_1) | instid1(VALU_DEP_2)
	v_and_b32_e32 v10, 0xfffffe00, v23
	v_dual_ashrrev_i32 v3, 5, v8 :: v_dual_ashrrev_i32 v23, 9, v23
	v_dual_lshlrev_b32 v8, 4, v11 :: v_dual_sub_nc_u32 v22, v9, v10
	s_delay_alu instid0(VALU_DEP_1) | instskip(NEXT) | instid1(VALU_DEP_2)
	v_lshl_add_u32 v8, v3, 9, v8
	v_cmp_lt_i32_e32 vcc_lo, 15, v22
	s_delay_alu instid0(VALU_DEP_4) | instskip(NEXT) | instid1(VALU_DEP_1)
	v_add_co_ci_u32_e64 v23, null, 0, v23, vcc_lo
	v_dual_sub_nc_u32 v40, v9, v8 :: v_dual_sub_nc_u32 v23, v23, v3
	s_delay_alu instid0(VALU_DEP_1)
	v_cmpx_lt_i32_e32 15, v40
	s_cbranch_execz .LBB4_920
; %bb.917:                              ;   in Loop: Header=BB4_800 Depth=3
	v_add_nc_u32_e32 v8, v8, v15
	s_mov_b32 s16, 0
	s_delay_alu instid0(VALU_DEP_1)
	v_ashrrev_i32_e32 v9, 31, v8
.LBB4_918:                              ;   Parent Loop BB4_47 Depth=1
                                        ;     Parent Loop BB4_797 Depth=2
                                        ;       Parent Loop BB4_800 Depth=3
                                        ; =>      This Inner Loop Header: Depth=4
	s_delay_alu instid0(VALU_DEP_1) | instskip(SKIP_1) | instid1(VALU_DEP_1)
	v_add_nc_u64_e32 v[28:29], v[18:19], v[8:9]
	v_dual_sub_nc_u32 v40, v40, v70 :: v_dual_sub_nc_u32 v23, v23, v52
	v_cmp_gt_i32_e64 s13, 16, v40
	global_load_b128 v[42:45], v[28:29], off th:TH_LOAD_NT
	s_wait_xcnt 0x0
	v_add_nc_u64_e32 v[28:29], v[20:21], v[8:9]
	v_add_nc_u64_e32 v[8:9], v[8:9], v[70:71]
	s_or_b32 s16, s13, s16
	s_wait_loadcnt 0x0
	global_store_b128 v[28:29], v[42:45], off th:TH_STORE_NT
	s_wait_xcnt 0x0
	s_and_not1_b32 exec_lo, exec_lo, s16
	s_cbranch_execnz .LBB4_918
; %bb.919:                              ;   in Loop: Header=BB4_800 Depth=3
	s_or_b32 exec_lo, exec_lo, s16
.LBB4_920:                              ;   in Loop: Header=BB4_800 Depth=3
	s_delay_alu instid0(SALU_CYCLE_1) | instskip(NEXT) | instid1(VALU_DEP_2)
	s_or_b32 exec_lo, exec_lo, s15
	v_cmp_lt_i32_e64 s13, 0, v23
	s_delay_alu instid0(VALU_DEP_1) | instskip(NEXT) | instid1(VALU_DEP_1)
	v_dual_cndmask_b32 v9, 0, v52, s13 :: v_dual_bitop2_b32 v3, 8, v13 bitop3:0x40
	v_dual_cndmask_b32 v13, v22, v3 :: v_dual_sub_nc_u32 v8, v22, v3
	s_delay_alu instid0(VALU_DEP_1) | instskip(NEXT) | instid1(VALU_DEP_2)
	v_dual_cndmask_b32 v3, 0, v8 :: v_dual_sub_nc_u32 v8, v9, v23
	v_cmp_ne_u32_e32 vcc_lo, 0, v13
	s_delay_alu instid0(VALU_DEP_2) | instskip(NEXT) | instid1(VALU_DEP_3)
	v_add3_u32 v10, v10, v15, v3
	v_lshl_add_u32 v11, v8, 5, v11
	s_and_b32 s15, vcc_lo, exec_lo
.LBB4_921:                              ;   in Loop: Header=BB4_800 Depth=3
	s_or_b32 exec_lo, exec_lo, s14
	s_and_saveexec_b32 s13, s15
	s_cbranch_execz .LBB4_930
.LBB4_922:                              ;   in Loop: Header=BB4_800 Depth=3
	s_delay_alu instid0(VALU_DEP_1) | instskip(SKIP_1) | instid1(VALU_DEP_1)
	v_dual_ashrrev_i32 v3, 31, v11 :: v_dual_ashrrev_i32 v8, 31, v13
	s_mov_b32 s14, exec_lo
	v_dual_lshrrev_b32 v3, 27, v3 :: v_dual_lshrrev_b32 v9, 23, v8
	s_delay_alu instid0(VALU_DEP_1) | instskip(NEXT) | instid1(VALU_DEP_1)
	v_dual_add_nc_u32 v8, v11, v3 :: v_dual_add_nc_u32 v3, v13, v9
	v_dual_ashrrev_i32 v15, 5, v8 :: v_dual_ashrrev_i32 v23, 9, v3
	s_delay_alu instid0(VALU_DEP_1) | instskip(NEXT) | instid1(VALU_DEP_1)
	v_sub_nc_u32_e32 v22, v23, v15
	v_cmpx_lt_i32_e32 0, v22
	s_cbranch_execz .LBB4_926
; %bb.923:                              ;   in Loop: Header=BB4_800 Depth=3
	v_and_b32_e32 v3, 0x1fffffe0, v8
	v_lshlrev_b32_e32 v8, 9, v15
	s_mov_b32 s15, 0
	s_delay_alu instid0(VALU_DEP_2) | instskip(NEXT) | instid1(VALU_DEP_1)
	v_sub_nc_u32_e32 v3, v11, v3
	v_lshlrev_b32_e32 v3, 3, v3
	s_delay_alu instid0(VALU_DEP_1) | instskip(NEXT) | instid1(VALU_DEP_1)
	v_add3_u32 v8, v3, v10, v8
	v_ashrrev_i32_e32 v9, 31, v8
.LBB4_924:                              ;   Parent Loop BB4_47 Depth=1
                                        ;     Parent Loop BB4_797 Depth=2
                                        ;       Parent Loop BB4_800 Depth=3
                                        ; =>      This Inner Loop Header: Depth=4
	s_delay_alu instid0(VALU_DEP_1)
	v_add_nc_u64_e32 v[28:29], v[18:19], v[8:9]
	v_sub_nc_u32_e32 v22, v22, v52
	v_add_nc_u64_e32 v[42:43], v[20:21], v[8:9]
	v_add_nc_u64_e32 v[8:9], v[8:9], v[70:71]
	s_clause 0x1
	flat_load_b64 v[40:41], v[28:29] th:TH_LOAD_NT
	flat_load_b64 v[28:29], v[28:29] offset:256 th:TH_LOAD_NT
	v_cmp_gt_i32_e32 vcc_lo, 1, v22
	s_wait_loadcnt_dscnt 0x101
	flat_store_b64 v[42:43], v[40:41] th:TH_STORE_NT
	s_wait_loadcnt_dscnt 0x1
	flat_store_b64 v[42:43], v[28:29] offset:256 th:TH_STORE_NT
	s_or_b32 s15, vcc_lo, s15
	s_wait_xcnt 0x0
	s_and_not1_b32 exec_lo, exec_lo, s15
	s_cbranch_execnz .LBB4_924
; %bb.925:                              ;   in Loop: Header=BB4_800 Depth=3
	s_or_b32 exec_lo, exec_lo, s15
.LBB4_926:                              ;   in Loop: Header=BB4_800 Depth=3
	s_delay_alu instid0(SALU_CYCLE_1) | instskip(SKIP_1) | instid1(VALU_DEP_1)
	s_or_b32 exec_lo, exec_lo, s14
	v_lshlrev_b32_e32 v8, 9, v23
	v_cmp_ne_u32_e32 vcc_lo, v13, v8
	s_and_b32 exec_lo, exec_lo, vcc_lo
	s_cbranch_execz .LBB4_930
; %bb.927:                              ;   in Loop: Header=BB4_800 Depth=3
	v_dual_lshlrev_b32 v3, 5, v15 :: v_dual_lshlrev_b32 v9, 5, v22
	s_delay_alu instid0(VALU_DEP_1) | instskip(NEXT) | instid1(VALU_DEP_1)
	v_sub_nc_u32_e32 v3, v11, v3
	v_sub_nc_u32_e32 v3, v3, v9
	s_delay_alu instid0(VALU_DEP_1) | instskip(NEXT) | instid1(VALU_DEP_1)
	v_ashrrev_i32_e32 v9, 31, v3
	v_lshrrev_b32_e32 v9, 27, v9
	s_delay_alu instid0(VALU_DEP_1) | instskip(NEXT) | instid1(VALU_DEP_1)
	v_add_nc_u32_e32 v9, v3, v9
	v_and_b32_e32 v11, 0x1fffffe0, v9
	s_delay_alu instid0(VALU_DEP_1) | instskip(NEXT) | instid1(VALU_DEP_1)
	v_dual_lshlrev_b32 v9, 3, v9 :: v_dual_sub_nc_u32 v3, v3, v11
	v_and_b32_e32 v9, 0xffffff00, v9
	s_delay_alu instid0(VALU_DEP_2) | instskip(NEXT) | instid1(VALU_DEP_1)
	v_lshlrev_b32_e32 v3, 3, v3
	v_add3_u32 v8, v9, v3, v8
	s_delay_alu instid0(VALU_DEP_1) | instskip(NEXT) | instid1(VALU_DEP_1)
	v_sub_nc_u32_e32 v11, v13, v8
	v_cmp_lt_i32_e32 vcc_lo, 7, v11
	s_and_b32 exec_lo, exec_lo, vcc_lo
	s_cbranch_execz .LBB4_930
; %bb.928:                              ;   in Loop: Header=BB4_800 Depth=3
	v_add_nc_u32_e32 v8, v8, v10
	s_mov_b32 s14, 0
	s_delay_alu instid0(VALU_DEP_1)
	v_ashrrev_i32_e32 v9, 31, v8
.LBB4_929:                              ;   Parent Loop BB4_47 Depth=1
                                        ;     Parent Loop BB4_797 Depth=2
                                        ;       Parent Loop BB4_800 Depth=3
                                        ; =>      This Inner Loop Header: Depth=4
	s_delay_alu instid0(VALU_DEP_1) | instskip(SKIP_3) | instid1(VALU_DEP_3)
	v_add_nc_u64_e32 v[22:23], v[18:19], v[8:9]
	v_sub_nc_u32_e32 v11, v11, v80
	v_add_nc_u64_e32 v[28:29], v[20:21], v[8:9]
	v_add_nc_u64_e32 v[8:9], v[8:9], v[80:81]
	v_cmp_gt_i32_e32 vcc_lo, 8, v11
	flat_load_b64 v[22:23], v[22:23] th:TH_LOAD_NT
	s_or_b32 s14, vcc_lo, s14
	s_wait_loadcnt_dscnt 0x0
	flat_store_b64 v[28:29], v[22:23] th:TH_STORE_NT
	s_wait_xcnt 0x0
	s_and_not1_b32 exec_lo, exec_lo, s14
	s_cbranch_execnz .LBB4_929
.LBB4_930:                              ;   in Loop: Header=BB4_800 Depth=3
	s_or_b32 exec_lo, exec_lo, s13
.LBB4_931:                              ;   in Loop: Header=BB4_800 Depth=3
	v_cmp_lt_i32_e64 s13, 0, v2
	s_and_saveexec_b32 s14, s2
	s_cbranch_execz .LBB4_876
.LBB4_932:                              ;   in Loop: Header=BB4_800 Depth=3
	s_and_saveexec_b32 s15, s3
	s_delay_alu instid0(SALU_CYCLE_1)
	s_xor_b32 s15, exec_lo, s15
	s_cbranch_execz .LBB4_947
; %bb.933:                              ;   in Loop: Header=BB4_800 Depth=3
	s_and_saveexec_b32 s16, s6
	s_cbranch_execz .LBB4_946
; %bb.934:                              ;   in Loop: Header=BB4_800 Depth=3
	s_mov_b32 s73, exec_lo
	s_mov_b32 s17, exec_lo
	v_mbcnt_lo_u32_b32 v2, s73, 0
	global_wb scope:SCOPE_DEV
	s_wait_storecnt 0x0
	s_wait_loadcnt_dscnt 0x0
	global_inv scope:SCOPE_DEV
	v_cmpx_eq_u32_e32 0, v2
	s_cbranch_execz .LBB4_936
; %bb.935:                              ;   in Loop: Header=BB4_800 Depth=3
	s_bcnt1_i32_b32 s73, s73
	s_delay_alu instid0(SALU_CYCLE_1)
	v_mov_b32_e32 v112, s73
	s_wait_loadcnt 0x0
	ds_add_u64 v2, v[112:113]
	s_trap 2
.LBB4_936:                              ;   in Loop: Header=BB4_800 Depth=3
	s_or_b32 exec_lo, exec_lo, s17
	s_trap 2
	ds_load_b64 v[2:3], v2
	s_wait_dscnt 0x0
	v_add_nc_u64_e32 v[48:49], v[48:49], v[52:53]
	s_mov_b32 s17, exec_lo
	s_delay_alu instid0(VALU_DEP_1)
	v_cmpx_lt_u64_e64 v[2:3], v[48:49]
	s_cbranch_execz .LBB4_945
; %bb.937:                              ;   in Loop: Header=BB4_800 Depth=3
	s_mov_b32 s73, 0
	s_mov_b32 s76, 0
                                        ; implicit-def: $sgpr74
                                        ; implicit-def: $sgpr75
	s_branch .LBB4_939
.LBB4_938:                              ;   in Loop: Header=BB4_939 Depth=4
	s_or_b32 exec_lo, exec_lo, s78
	s_delay_alu instid0(SALU_CYCLE_1) | instskip(NEXT) | instid1(SALU_CYCLE_1)
	s_and_b32 s77, exec_lo, s79
	s_or_b32 s73, s77, s73
	s_and_not1_b32 s74, s74, exec_lo
	s_and_b32 s77, s75, exec_lo
	s_delay_alu instid0(SALU_CYCLE_1)
	s_or_b32 s74, s74, s77
	s_and_not1_b32 exec_lo, exec_lo, s73
	s_cbranch_execz .LBB4_943
.LBB4_939:                              ;   Parent Loop BB4_47 Depth=1
                                        ;     Parent Loop BB4_797 Depth=2
                                        ;       Parent Loop BB4_800 Depth=3
                                        ; =>      This Inner Loop Header: Depth=4
	s_add_co_i32 s76, s76, 1
	s_delay_alu instid0(SALU_CYCLE_1) | instskip(SKIP_1) | instid1(SALU_CYCLE_1)
	s_cmp_lg_u32 s76, 0x2710
	s_cselect_b32 s77, -1, 0
	s_and_b32 vcc_lo, exec_lo, s77
	s_cbranch_vccz .LBB4_941
; %bb.940:                              ;   in Loop: Header=BB4_939 Depth=4
	s_mov_b32 s79, -1
	s_or_b32 s75, s75, exec_lo
	s_and_saveexec_b32 s78, s77
	s_cbranch_execz .LBB4_938
	s_branch .LBB4_942
.LBB4_941:                              ;   in Loop: Header=BB4_939 Depth=4
	s_trap 2
	ds_load_b64 v[2:3], v2
	s_and_not1_b32 s77, s77, exec_lo
	s_mov_b32 s76, 0
	s_wait_loadcnt_dscnt 0x0
	flat_load_b32 v2, v[2:3] scope:SCOPE_SYS
	s_wait_loadcnt_dscnt 0x0
	global_inv scope:SCOPE_SYS
	v_cmp_eq_u32_e32 vcc_lo, 0, v2
	s_and_b32 s78, vcc_lo, exec_lo
	s_delay_alu instid0(SALU_CYCLE_1)
	s_or_b32 s77, s77, s78
	s_mov_b32 s79, -1
	s_or_b32 s75, s75, exec_lo
	s_and_saveexec_b32 s78, s77
	s_cbranch_execz .LBB4_938
.LBB4_942:                              ;   in Loop: Header=BB4_939 Depth=4
	s_sleep 1
	s_trap 2
	ds_load_b64 v[2:3], v2
	s_wait_dscnt 0x0
	s_and_not1_b32 s75, s75, exec_lo
	v_cmp_ge_u64_e32 vcc_lo, v[2:3], v[48:49]
	s_or_not1_b32 s79, vcc_lo, exec_lo
	s_branch .LBB4_938
.LBB4_943:                              ;   in Loop: Header=BB4_800 Depth=3
	s_or_b32 exec_lo, exec_lo, s73
	s_and_saveexec_b32 s73, s74
	s_delay_alu instid0(SALU_CYCLE_1)
	s_xor_b32 s73, exec_lo, s73
	s_cbranch_execz .LBB4_945
; %bb.944:                              ;   in Loop: Header=BB4_800 Depth=3
	ds_store_b32 v2, v111
	s_trap 2
.LBB4_945:                              ;   in Loop: Header=BB4_800 Depth=3
	s_or_b32 exec_lo, exec_lo, s17
	;;#ASMSTART
	s_wakeup
	;;#ASMEND
.LBB4_946:                              ;   in Loop: Header=BB4_800 Depth=3
	s_or_b32 exec_lo, exec_lo, s16
.LBB4_947:                              ;   in Loop: Header=BB4_800 Depth=3
	s_and_not1_saveexec_b32 s15, s15
	s_cbranch_execz .LBB4_949
; %bb.948:                              ;   in Loop: Header=BB4_800 Depth=3
	global_wb scope:SCOPE_DEV
	s_wait_storecnt 0x0
	s_wait_loadcnt_dscnt 0x0
	global_inv scope:SCOPE_DEV
	s_barrier_signal -1
	s_barrier_wait -1
.LBB4_949:                              ;   in Loop: Header=BB4_800 Depth=3
	s_or_b32 exec_lo, exec_lo, s15
	s_delay_alu instid0(SALU_CYCLE_1) | instskip(SKIP_1) | instid1(SALU_CYCLE_1)
	s_or_b32 exec_lo, exec_lo, s14
                                        ; implicit-def: $vgpr2
	s_and_saveexec_b32 s14, s12
	s_xor_b32 s14, exec_lo, s14
	s_cbranch_execnz .LBB4_877
.LBB4_950:                              ;   in Loop: Header=BB4_800 Depth=3
	s_and_not1_saveexec_b32 s13, s14
	s_cbranch_execz .LBB4_969
.LBB4_951:                              ;   in Loop: Header=BB4_800 Depth=3
	s_and_saveexec_b32 s14, s3
	s_delay_alu instid0(SALU_CYCLE_1)
	s_xor_b32 s14, exec_lo, s14
	s_cbranch_execz .LBB4_966
; %bb.952:                              ;   in Loop: Header=BB4_800 Depth=3
	s_and_saveexec_b32 s15, s6
	s_cbranch_execz .LBB4_965
; %bb.953:                              ;   in Loop: Header=BB4_800 Depth=3
	s_mov_b32 s17, exec_lo
	s_mov_b32 s16, exec_lo
	v_mbcnt_lo_u32_b32 v2, s17, 0
	;;#ASMSTART
	s_waitcnt lgkmcnt(0) vmcnt(0)
	;;#ASMEND
	s_delay_alu instid0(VALU_DEP_1)
	v_cmpx_eq_u32_e32 0, v2
	s_cbranch_execz .LBB4_955
; %bb.954:                              ;   in Loop: Header=BB4_800 Depth=3
	s_bcnt1_i32_b32 s17, s17
	s_delay_alu instid0(SALU_CYCLE_1)
	v_mov_b32_e32 v112, s17
	s_wait_storecnt 0x0
	s_wait_loadcnt_dscnt 0x0
	ds_add_u64 v2, v[112:113]
	s_trap 2
.LBB4_955:                              ;   in Loop: Header=BB4_800 Depth=3
	s_or_b32 exec_lo, exec_lo, s16
	s_trap 2
	ds_load_b64 v[2:3], v2
	s_wait_dscnt 0x0
	v_add_nc_u64_e32 v[48:49], v[48:49], v[52:53]
	s_mov_b32 s16, exec_lo
	s_delay_alu instid0(VALU_DEP_1)
	v_cmpx_lt_u64_e64 v[2:3], v[48:49]
	s_cbranch_execz .LBB4_964
; %bb.956:                              ;   in Loop: Header=BB4_800 Depth=3
	s_mov_b32 s17, 0
	s_mov_b32 s75, 0
                                        ; implicit-def: $sgpr73
                                        ; implicit-def: $sgpr74
	s_branch .LBB4_958
.LBB4_957:                              ;   in Loop: Header=BB4_958 Depth=4
	s_or_b32 exec_lo, exec_lo, s77
	s_delay_alu instid0(SALU_CYCLE_1) | instskip(NEXT) | instid1(SALU_CYCLE_1)
	s_and_b32 s76, exec_lo, s78
	s_or_b32 s17, s76, s17
	s_and_not1_b32 s73, s73, exec_lo
	s_and_b32 s76, s74, exec_lo
	s_delay_alu instid0(SALU_CYCLE_1)
	s_or_b32 s73, s73, s76
	s_and_not1_b32 exec_lo, exec_lo, s17
	s_cbranch_execz .LBB4_962
.LBB4_958:                              ;   Parent Loop BB4_47 Depth=1
                                        ;     Parent Loop BB4_797 Depth=2
                                        ;       Parent Loop BB4_800 Depth=3
                                        ; =>      This Inner Loop Header: Depth=4
	s_add_co_i32 s75, s75, 1
	s_delay_alu instid0(SALU_CYCLE_1) | instskip(SKIP_1) | instid1(SALU_CYCLE_1)
	s_cmp_lg_u32 s75, 0x2710
	s_cselect_b32 s76, -1, 0
	s_and_b32 vcc_lo, exec_lo, s76
	s_cbranch_vccz .LBB4_960
; %bb.959:                              ;   in Loop: Header=BB4_958 Depth=4
	s_mov_b32 s78, -1
	s_or_b32 s74, s74, exec_lo
	s_and_saveexec_b32 s77, s76
	s_cbranch_execz .LBB4_957
	s_branch .LBB4_961
.LBB4_960:                              ;   in Loop: Header=BB4_958 Depth=4
	s_trap 2
	ds_load_b64 v[2:3], v2
	s_and_not1_b32 s76, s76, exec_lo
	s_mov_b32 s75, 0
	s_wait_storecnt 0x0
	s_wait_loadcnt_dscnt 0x0
	flat_load_b32 v2, v[2:3] scope:SCOPE_SYS
	s_wait_loadcnt_dscnt 0x0
	global_inv scope:SCOPE_SYS
	v_cmp_eq_u32_e32 vcc_lo, 0, v2
	s_and_b32 s77, vcc_lo, exec_lo
	s_delay_alu instid0(SALU_CYCLE_1)
	s_or_b32 s76, s76, s77
	s_mov_b32 s78, -1
	s_or_b32 s74, s74, exec_lo
	s_and_saveexec_b32 s77, s76
	s_cbranch_execz .LBB4_957
.LBB4_961:                              ;   in Loop: Header=BB4_958 Depth=4
	s_sleep 1
	s_trap 2
	ds_load_b64 v[2:3], v2
	s_wait_dscnt 0x0
	s_and_not1_b32 s74, s74, exec_lo
	v_cmp_ge_u64_e32 vcc_lo, v[2:3], v[48:49]
	s_or_not1_b32 s78, vcc_lo, exec_lo
	s_branch .LBB4_957
.LBB4_962:                              ;   in Loop: Header=BB4_800 Depth=3
	s_or_b32 exec_lo, exec_lo, s17
	s_and_saveexec_b32 s17, s73
	s_delay_alu instid0(SALU_CYCLE_1)
	s_xor_b32 s17, exec_lo, s17
	s_cbranch_execz .LBB4_964
; %bb.963:                              ;   in Loop: Header=BB4_800 Depth=3
	ds_store_b32 v2, v111
	s_trap 2
.LBB4_964:                              ;   in Loop: Header=BB4_800 Depth=3
	s_or_b32 exec_lo, exec_lo, s16
	;;#ASMSTART
	s_wakeup
	;;#ASMEND
.LBB4_965:                              ;   in Loop: Header=BB4_800 Depth=3
	s_or_b32 exec_lo, exec_lo, s15
.LBB4_966:                              ;   in Loop: Header=BB4_800 Depth=3
	s_and_not1_saveexec_b32 s14, s14
	s_cbranch_execz .LBB4_968
; %bb.967:                              ;   in Loop: Header=BB4_800 Depth=3
	;;#ASMSTART
	s_waitcnt lgkmcnt(0) vmcnt(0)
	;;#ASMEND
	s_barrier_signal -1
	s_barrier_wait -1
.LBB4_968:                              ;   in Loop: Header=BB4_800 Depth=3
	s_or_b32 exec_lo, exec_lo, s14
	v_and_b32_e32 v2, 16, v30
.LBB4_969:                              ;   in Loop: Header=BB4_800 Depth=3
	s_or_b32 exec_lo, exec_lo, s13
	s_delay_alu instid0(VALU_DEP_1) | instskip(SKIP_1) | instid1(SALU_CYCLE_1)
	v_cmp_ne_u32_e32 vcc_lo, 0, v2
	s_xor_b32 s13, s4, -1
	s_and_b32 s14, vcc_lo, s13
	s_delay_alu instid0(SALU_CYCLE_1)
	s_and_saveexec_b32 s13, s14
	s_cbranch_execz .LBB4_971
; %bb.970:                              ;   in Loop: Header=BB4_800 Depth=3
	global_wb scope:SCOPE_SYS
	s_wait_storecnt 0x0
	s_wait_loadcnt_dscnt 0x0
	flat_store_b32 v[38:39], v111 scope:SCOPE_SYS
.LBB4_971:                              ;   in Loop: Header=BB4_800 Depth=3
	s_wait_xcnt 0x0
	s_or_b32 exec_lo, exec_lo, s13
	v_and_b32_e32 v2, 48, v30
	s_mov_b32 s13, exec_lo
	s_delay_alu instid0(VALU_DEP_1)
	v_cmpx_ne_u32_e32 0, v2
	s_cbranch_execz .LBB4_799
; %bb.972:                              ;   in Loop: Header=BB4_800 Depth=3
	v_add_nc_u64_e32 v[114:115], 2, v[114:115]
	global_wb scope:SCOPE_SYS
	s_wait_storecnt 0x0
	s_wait_loadcnt_dscnt 0x0
	flat_store_b64 v[32:33], v[114:115] scope:SCOPE_SYS
	s_branch .LBB4_799
.LBB4_973:                              ;   in Loop: Header=BB4_797 Depth=2
	s_or_b32 exec_lo, exec_lo, s44
.LBB4_974:                              ;   in Loop: Header=BB4_797 Depth=2
	s_delay_alu instid0(SALU_CYCLE_1) | instskip(NEXT) | instid1(SALU_CYCLE_1)
	s_or_b32 exec_lo, exec_lo, s41
	s_mov_b32 s14, exec_lo
	v_cmpx_gt_i32_e32 2, v2
	s_cbranch_execz .LBB4_1050
; %bb.975:                              ;   in Loop: Header=BB4_797 Depth=2
	v_cmp_eq_u32_e64 s16, 0, v2
	s_mov_b32 s15, 0
	s_branch .LBB4_977
.LBB4_976:                              ;   in Loop: Header=BB4_977 Depth=3
	s_wait_xcnt 0x0
	s_or_b32 exec_lo, exec_lo, s13
	v_add_nc_u32_e32 v14, v12, v14
	s_mov_b32 s16, 0
	s_and_not1_b32 exec_lo, exec_lo, s15
	s_cbranch_execz .LBB4_1049
.LBB4_977:                              ;   Parent Loop BB4_47 Depth=1
                                        ;     Parent Loop BB4_797 Depth=2
                                        ; =>    This Loop Header: Depth=3
                                        ;         Child Loop BB4_983 Depth 4
                                        ;         Child Loop BB4_1011 Depth 4
	;; [unrolled: 1-line block ×3, first 2 shown]
	s_delay_alu instid0(VALU_DEP_1) | instskip(SKIP_2) | instid1(VALU_DEP_2)
	v_sub_nc_u32_e32 v2, v46, v14
	v_and_b32_e32 v3, 12, v30
	s_mov_b32 s17, exec_lo
	v_min_i32_e32 v12, v12, v2
	s_delay_alu instid0(VALU_DEP_2)
	v_cmpx_ne_u32_e32 0, v3
	s_cbranch_execz .LBB4_1003
; %bb.978:                              ;   in Loop: Header=BB4_977 Depth=3
	v_and_b32_e32 v112, 8, v30
	v_add_nc_u64_e32 v[8:9], 2, v[114:115]
	s_mov_b32 s41, exec_lo
	s_wait_loadcnt_dscnt 0x1
	s_delay_alu instid0(VALU_DEP_2) | instskip(NEXT) | instid1(VALU_DEP_1)
	v_add_nc_u64_e32 v[2:3], v[50:51], v[112:113]
	v_cmpx_lt_u64_e64 v[2:3], v[8:9]
	s_cbranch_execz .LBB4_990
; %bb.979:                              ;   in Loop: Header=BB4_977 Depth=3
	v_and_b32_e32 v2, 64, v30
	s_mov_b32 s44, 0
	s_mov_b32 s74, 0
                                        ; implicit-def: $sgpr45
                                        ; implicit-def: $sgpr72
                                        ; implicit-def: $sgpr73
	s_delay_alu instid0(VALU_DEP_1)
	v_cmp_eq_u32_e32 vcc_lo, 0, v2
	s_branch .LBB4_983
.LBB4_980:                              ;   in Loop: Header=BB4_983 Depth=4
	s_wait_loadcnt_dscnt 0x0
	v_add_nc_u64_e32 v[2:3], v[50:51], v[112:113]
	s_or_b32 s77, s77, exec_lo
	s_delay_alu instid0(VALU_DEP_1)
	v_cmp_ge_u64_e64 s13, v[2:3], v[8:9]
	s_or_not1_b32 s76, s13, exec_lo
.LBB4_981:                              ;   in Loop: Header=BB4_983 Depth=4
	s_or_b32 exec_lo, exec_lo, s79
	s_delay_alu instid0(SALU_CYCLE_1)
	s_and_not1_b32 s13, s73, exec_lo
	s_and_b32 s73, s77, exec_lo
	s_and_not1_b32 s72, s72, exec_lo
	s_and_b32 s76, s76, exec_lo
	s_or_b32 s73, s13, s73
	s_or_b32 s72, s72, s76
.LBB4_982:                              ;   in Loop: Header=BB4_983 Depth=4
	s_or_b32 exec_lo, exec_lo, s75
	s_delay_alu instid0(SALU_CYCLE_1) | instskip(NEXT) | instid1(SALU_CYCLE_1)
	s_and_b32 s13, exec_lo, s72
	s_or_b32 s44, s13, s44
	s_and_not1_b32 s13, s45, exec_lo
	s_and_b32 s45, s73, exec_lo
	s_delay_alu instid0(SALU_CYCLE_1)
	s_or_b32 s45, s13, s45
	s_and_not1_b32 exec_lo, exec_lo, s44
	s_cbranch_execz .LBB4_987
.LBB4_983:                              ;   Parent Loop BB4_47 Depth=1
                                        ;     Parent Loop BB4_797 Depth=2
                                        ;       Parent Loop BB4_977 Depth=3
                                        ; =>      This Inner Loop Header: Depth=4
	s_sleep 1
	s_wait_loadcnt_dscnt 0x0
	flat_load_b64 v[50:51], v[32:33] scope:SCOPE_SYS
	s_or_b32 s73, s73, exec_lo
	s_or_b32 s72, s72, exec_lo
                                        ; implicit-def: $vgpr10
	s_wait_xcnt 0x0
	s_and_saveexec_b32 s75, vcc_lo
	s_cbranch_execz .LBB4_982
; %bb.984:                              ;   in Loop: Header=BB4_983 Depth=4
	s_cmp_lt_i32 s74, 0x270f
	s_mov_b32 s76, -1
	s_cselect_b32 s78, -1, 0
	s_cmp_gt_i32 s74, 0x270e
	s_cbranch_scc0 .LBB4_986
; %bb.985:                              ;   in Loop: Header=BB4_983 Depth=4
	s_trap 2
	ds_load_b64 v[2:3], v2
	s_and_not1_b32 s74, s78, exec_lo
	s_mov_b32 s77, 0
	s_wait_storecnt 0x0
	s_wait_loadcnt_dscnt 0x0
	flat_load_b32 v10, v[2:3] scope:SCOPE_SYS
	s_wait_loadcnt_dscnt 0x0
	global_inv scope:SCOPE_SYS
	v_cmp_eq_u32_e64 s13, 0, v10
	s_and_b32 s13, s13, exec_lo
	s_delay_alu instid0(SALU_CYCLE_1)
	s_or_b32 s78, s74, s13
	s_mov_b32 s74, 0
	s_and_saveexec_b32 s79, s78
	s_cbranch_execz .LBB4_981
	s_branch .LBB4_980
.LBB4_986:                              ;   in Loop: Header=BB4_983 Depth=4
	s_add_co_i32 s74, s74, 1
	s_mov_b32 s77, -1
                                        ; implicit-def: $vgpr10
	s_and_saveexec_b32 s79, s78
	s_cbranch_execz .LBB4_981
	s_branch .LBB4_980
.LBB4_987:                              ;   in Loop: Header=BB4_977 Depth=3
	s_or_b32 exec_lo, exec_lo, s44
	s_xor_b32 s13, s45, -1
	s_delay_alu instid0(SALU_CYCLE_1) | instskip(NEXT) | instid1(SALU_CYCLE_1)
	s_and_saveexec_b32 s44, s13
	s_xor_b32 s13, exec_lo, s44
	s_cbranch_execz .LBB4_989
; %bb.988:                              ;   in Loop: Header=BB4_977 Depth=3
	v_or_b32_e32 v30, 64, v30
	s_wait_storecnt 0x0
	s_wait_loadcnt_dscnt 0x0
	ds_store_b32 v2, v10
	s_trap 2
.LBB4_989:                              ;   in Loop: Header=BB4_977 Depth=3
	s_or_b32 exec_lo, exec_lo, s13
.LBB4_990:                              ;   in Loop: Header=BB4_977 Depth=3
	s_delay_alu instid0(SALU_CYCLE_1) | instskip(SKIP_3) | instid1(VALU_DEP_1)
	s_or_b32 exec_lo, exec_lo, s41
	v_and_b32_e32 v2, 0x108, v30
	s_mov_b32 s13, exec_lo
	;;#ASMSTART
	s_wakeup
	;;#ASMEND
                                        ; implicit-def: $vgpr10_vgpr11
	v_cmpx_ne_u32_e32 0x108, v2
	s_xor_b32 s13, exec_lo, s13
; %bb.991:                              ;   in Loop: Header=BB4_977 Depth=3
	v_dual_mov_b32 v11, v113 :: v_dual_bitop2_b32 v10, 7, v114 bitop3:0x40
                                        ; implicit-def: $vgpr114_vgpr115
; %bb.992:                              ;   in Loop: Header=BB4_977 Depth=3
	s_and_not1_saveexec_b32 s13, s13
	s_cbranch_execz .LBB4_994
; %bb.993:                              ;   in Loop: Header=BB4_977 Depth=3
	v_dual_ashrrev_i32 v13, 31, v12 :: v_dual_bitop2_b32 v10, 7, v114 bitop3:0x40
	v_mov_b32_e32 v11, v113
	s_delay_alu instid0(VALU_DEP_2) | instskip(NEXT) | instid1(VALU_DEP_3)
	v_mad_nc_u64_u32 v[2:3], v10, 24, v[6:7]
	v_lshlrev_b64_e32 v[16:17], 3, v[12:13]
	flat_store_b64 v[2:3], v[16:17] offset:8
.LBB4_994:                              ;   in Loop: Header=BB4_977 Depth=3
	s_wait_xcnt 0x0
	s_or_b32 exec_lo, exec_lo, s13
	v_and_b32_e32 v2, 0x100, v30
	s_mov_b32 s13, -1
	s_mov_b32 s41, exec_lo
                                        ; implicit-def: $vgpr16_vgpr17
	s_delay_alu instid0(VALU_DEP_1)
	v_cmpx_ne_u32_e32 0, v2
	s_cbranch_execz .LBB4_998
; %bb.995:                              ;   in Loop: Header=BB4_977 Depth=3
	v_mad_nc_u64_u32 v[18:19], v10, 24, v[6:7]
	s_mov_b32 s44, exec_lo
                                        ; implicit-def: $vgpr16_vgpr17
	s_delay_alu instid0(VALU_DEP_1)
	v_mad_u32 v19, v11, 24, v19
	flat_load_b32 v2, v[18:19]
	s_wait_loadcnt_dscnt 0x0
	v_cmp_ne_u32_e32 vcc_lo, 1, v2
	s_wait_xcnt 0x0
	v_cmpx_eq_u32_e32 1, v2
	s_cbranch_execz .LBB4_997
; %bb.996:                              ;   in Loop: Header=BB4_977 Depth=3
	flat_load_b32 v2, v[18:19] offset:4 scope:SCOPE_SYS
	s_wait_loadcnt_dscnt 0x0
	v_ashrrev_i32_e32 v3, 31, v2
	s_delay_alu instid0(VALU_DEP_1)
	v_lshrrev_b64 v[16:17], 3, v[2:3]
.LBB4_997:                              ;   in Loop: Header=BB4_977 Depth=3
	s_wait_xcnt 0x0
	s_or_b32 exec_lo, exec_lo, s44
	s_delay_alu instid0(SALU_CYCLE_1)
	s_or_not1_b32 s13, vcc_lo, exec_lo
.LBB4_998:                              ;   in Loop: Header=BB4_977 Depth=3
	s_or_b32 exec_lo, exec_lo, s41
	s_and_saveexec_b32 s41, s13
; %bb.999:                              ;   in Loop: Header=BB4_977 Depth=3
	v_mul_u64_e32 v[16:17], v[10:11], v[34:35]
; %bb.1000:                             ;   in Loop: Header=BB4_977 Depth=3
	s_or_b32 exec_lo, exec_lo, s41
	v_cmp_eq_u32_e32 vcc_lo, 0, v112
	v_and_b32_e32 v11, 0x2000, v30
	s_delay_alu instid0(VALU_DEP_3) | instskip(SKIP_2) | instid1(VALU_DEP_1)
	v_lshl_add_u64 v[2:3], v[16:17], 3, v[36:37]
	s_mov_b32 s13, exec_lo
	v_cndmask_b32_e32 v10, 0xd0, v121, vcc_lo
	v_add_nc_u32_e32 v10, v0, v10
	ds_store_b64 v10, v[2:3] offset:584
	v_cmpx_ne_u32_e32 0, v11
	s_cbranch_execz .LBB4_1002
; %bb.1001:                             ;   in Loop: Header=BB4_977 Depth=3
	ds_load_b64 v[2:3], v0 offset:872
	s_wait_dscnt 0x0
	v_add_nc_u64_e32 v[2:3], 1, v[2:3]
	ds_store_b64 v0, v[2:3] offset:872
.LBB4_1002:                             ;   in Loop: Header=BB4_977 Depth=3
	s_or_b32 exec_lo, exec_lo, s13
	v_mov_b64_e32 v[114:115], v[8:9]
.LBB4_1003:                             ;   in Loop: Header=BB4_977 Depth=3
	s_or_b32 exec_lo, exec_lo, s17
	s_xor_b32 s13, s16, -1
	s_delay_alu instid0(SALU_CYCLE_1) | instskip(NEXT) | instid1(SALU_CYCLE_1)
	s_and_b32 s13, exec_lo, s13
	s_or_b32 s15, s13, s15
	s_and_saveexec_b32 s13, s2
	s_cbranch_execz .LBB4_1022
; %bb.1004:                             ;   in Loop: Header=BB4_977 Depth=3
	s_and_saveexec_b32 s16, s3
	s_delay_alu instid0(SALU_CYCLE_1)
	s_xor_b32 s16, exec_lo, s16
	s_cbranch_execz .LBB4_1019
; %bb.1005:                             ;   in Loop: Header=BB4_977 Depth=3
	s_and_saveexec_b32 s17, s6
	s_cbranch_execz .LBB4_1018
; %bb.1006:                             ;   in Loop: Header=BB4_977 Depth=3
	s_mov_b32 s44, exec_lo
	s_mov_b32 s41, exec_lo
	v_mbcnt_lo_u32_b32 v2, s44, 0
	global_wb scope:SCOPE_DEV
	s_wait_storecnt 0x0
	s_wait_loadcnt_dscnt 0x0
	global_inv scope:SCOPE_DEV
	v_cmpx_eq_u32_e32 0, v2
	s_cbranch_execz .LBB4_1008
; %bb.1007:                             ;   in Loop: Header=BB4_977 Depth=3
	s_bcnt1_i32_b32 s44, s44
	s_delay_alu instid0(SALU_CYCLE_1)
	v_mov_b32_e32 v112, s44
	s_wait_loadcnt 0x0
	ds_add_u64 v2, v[112:113]
	s_trap 2
.LBB4_1008:                             ;   in Loop: Header=BB4_977 Depth=3
	s_or_b32 exec_lo, exec_lo, s41
	s_trap 2
	ds_load_b64 v[2:3], v2
	s_wait_dscnt 0x0
	v_add_nc_u64_e32 v[48:49], v[48:49], v[52:53]
	s_mov_b32 s41, exec_lo
	s_delay_alu instid0(VALU_DEP_1)
	v_cmpx_lt_u64_e64 v[2:3], v[48:49]
	s_cbranch_execz .LBB4_1017
; %bb.1009:                             ;   in Loop: Header=BB4_977 Depth=3
	s_mov_b32 s44, 0
	s_mov_b32 s73, 0
                                        ; implicit-def: $sgpr45
                                        ; implicit-def: $sgpr72
	s_branch .LBB4_1011
.LBB4_1010:                             ;   in Loop: Header=BB4_1011 Depth=4
	s_or_b32 exec_lo, exec_lo, s75
	s_delay_alu instid0(SALU_CYCLE_1) | instskip(NEXT) | instid1(SALU_CYCLE_1)
	s_and_b32 s74, exec_lo, s76
	s_or_b32 s44, s74, s44
	s_and_not1_b32 s45, s45, exec_lo
	s_and_b32 s74, s72, exec_lo
	s_delay_alu instid0(SALU_CYCLE_1)
	s_or_b32 s45, s45, s74
	s_and_not1_b32 exec_lo, exec_lo, s44
	s_cbranch_execz .LBB4_1015
.LBB4_1011:                             ;   Parent Loop BB4_47 Depth=1
                                        ;     Parent Loop BB4_797 Depth=2
                                        ;       Parent Loop BB4_977 Depth=3
                                        ; =>      This Inner Loop Header: Depth=4
	s_add_co_i32 s73, s73, 1
	s_delay_alu instid0(SALU_CYCLE_1) | instskip(SKIP_1) | instid1(SALU_CYCLE_1)
	s_cmp_lg_u32 s73, 0x2710
	s_cselect_b32 s74, -1, 0
	s_and_b32 vcc_lo, exec_lo, s74
	s_cbranch_vccz .LBB4_1013
; %bb.1012:                             ;   in Loop: Header=BB4_1011 Depth=4
	s_mov_b32 s76, -1
	s_or_b32 s72, s72, exec_lo
	s_and_saveexec_b32 s75, s74
	s_cbranch_execz .LBB4_1010
	s_branch .LBB4_1014
.LBB4_1013:                             ;   in Loop: Header=BB4_1011 Depth=4
	s_trap 2
	ds_load_b64 v[2:3], v2
	s_and_not1_b32 s74, s74, exec_lo
	s_mov_b32 s73, 0
	s_wait_loadcnt_dscnt 0x0
	flat_load_b32 v2, v[2:3] scope:SCOPE_SYS
	s_wait_loadcnt_dscnt 0x0
	global_inv scope:SCOPE_SYS
	v_cmp_eq_u32_e32 vcc_lo, 0, v2
	s_and_b32 s75, vcc_lo, exec_lo
	s_delay_alu instid0(SALU_CYCLE_1)
	s_or_b32 s74, s74, s75
	s_mov_b32 s76, -1
	s_or_b32 s72, s72, exec_lo
	s_and_saveexec_b32 s75, s74
	s_cbranch_execz .LBB4_1010
.LBB4_1014:                             ;   in Loop: Header=BB4_1011 Depth=4
	s_sleep 1
	s_trap 2
	ds_load_b64 v[2:3], v2
	s_wait_dscnt 0x0
	s_and_not1_b32 s72, s72, exec_lo
	v_cmp_ge_u64_e32 vcc_lo, v[2:3], v[48:49]
	s_or_not1_b32 s76, vcc_lo, exec_lo
	s_branch .LBB4_1010
.LBB4_1015:                             ;   in Loop: Header=BB4_977 Depth=3
	s_or_b32 exec_lo, exec_lo, s44
	s_and_saveexec_b32 s44, s45
	s_delay_alu instid0(SALU_CYCLE_1)
	s_xor_b32 s44, exec_lo, s44
	s_cbranch_execz .LBB4_1017
; %bb.1016:                             ;   in Loop: Header=BB4_977 Depth=3
	ds_store_b32 v2, v111
	s_trap 2
.LBB4_1017:                             ;   in Loop: Header=BB4_977 Depth=3
	s_or_b32 exec_lo, exec_lo, s41
	;;#ASMSTART
	s_wakeup
	;;#ASMEND
.LBB4_1018:                             ;   in Loop: Header=BB4_977 Depth=3
	s_or_b32 exec_lo, exec_lo, s17
.LBB4_1019:                             ;   in Loop: Header=BB4_977 Depth=3
	s_and_not1_saveexec_b32 s16, s16
	s_cbranch_execz .LBB4_1021
; %bb.1020:                             ;   in Loop: Header=BB4_977 Depth=3
	global_wb scope:SCOPE_DEV
	s_wait_storecnt 0x0
	s_wait_loadcnt_dscnt 0x0
	global_inv scope:SCOPE_DEV
	s_barrier_signal -1
	s_barrier_wait -1
.LBB4_1021:                             ;   in Loop: Header=BB4_977 Depth=3
	s_or_b32 exec_lo, exec_lo, s16
.LBB4_1022:                             ;   in Loop: Header=BB4_977 Depth=3
	s_delay_alu instid0(SALU_CYCLE_1) | instskip(SKIP_1) | instid1(SALU_CYCLE_1)
	s_or_b32 exec_lo, exec_lo, s13
                                        ; implicit-def: $vgpr2
	s_and_saveexec_b32 s13, s12
	s_xor_b32 s16, exec_lo, s13
	s_cbranch_execz .LBB4_1026
; %bb.1023:                             ;   in Loop: Header=BB4_977 Depth=3
	s_trap 2
	ds_load_b32 v2, v3
	v_cmp_lt_i32_e32 vcc_lo, 0, v12
	s_wait_dscnt 0x0
	v_readfirstlane_b32 s13, v2
	v_and_b32_e32 v2, 16, v30
	s_cmp_eq_u32 s13, 0
	s_delay_alu instid0(VALU_DEP_1) | instskip(SKIP_3) | instid1(SALU_CYCLE_1)
	v_cmp_ne_u32_e64 s13, 0, v2
	s_cselect_b32 s17, -1, 0
	v_and_b32_e32 v2, 16, v30
	s_and_b32 s17, vcc_lo, s17
	s_and_b32 s17, s13, s17
	s_delay_alu instid0(SALU_CYCLE_1)
	s_and_saveexec_b32 s13, s17
	s_cbranch_execz .LBB4_1025
; %bb.1024:                             ;   in Loop: Header=BB4_977 Depth=3
	v_mov_b32_e32 v2, 1
	global_wb scope:SCOPE_SYS
	s_wait_loadcnt 0x0
	s_wait_storecnt 0x0
	global_inv scope:SCOPE_SYS
.LBB4_1025:                             ;   in Loop: Header=BB4_977 Depth=3
	s_or_b32 exec_lo, exec_lo, s13
	s_and_not1_saveexec_b32 s13, s16
	s_cbranch_execz .LBB4_1045
	s_branch .LBB4_1027
.LBB4_1026:                             ;   in Loop: Header=BB4_977 Depth=3
	s_and_not1_saveexec_b32 s13, s16
	s_cbranch_execz .LBB4_1045
.LBB4_1027:                             ;   in Loop: Header=BB4_977 Depth=3
	s_and_saveexec_b32 s16, s3
	s_delay_alu instid0(SALU_CYCLE_1)
	s_xor_b32 s16, exec_lo, s16
	s_cbranch_execz .LBB4_1042
; %bb.1028:                             ;   in Loop: Header=BB4_977 Depth=3
	s_and_saveexec_b32 s17, s6
	s_cbranch_execz .LBB4_1041
; %bb.1029:                             ;   in Loop: Header=BB4_977 Depth=3
	s_mov_b32 s44, exec_lo
	s_mov_b32 s41, exec_lo
	v_mbcnt_lo_u32_b32 v2, s44, 0
	;;#ASMSTART
	s_waitcnt lgkmcnt(0) vmcnt(0)
	;;#ASMEND
	s_delay_alu instid0(VALU_DEP_1)
	v_cmpx_eq_u32_e32 0, v2
	s_cbranch_execz .LBB4_1031
; %bb.1030:                             ;   in Loop: Header=BB4_977 Depth=3
	s_bcnt1_i32_b32 s44, s44
	s_delay_alu instid0(SALU_CYCLE_1)
	v_mov_b32_e32 v112, s44
	s_wait_storecnt 0x0
	s_wait_loadcnt_dscnt 0x0
	ds_add_u64 v2, v[112:113]
	s_trap 2
.LBB4_1031:                             ;   in Loop: Header=BB4_977 Depth=3
	s_or_b32 exec_lo, exec_lo, s41
	s_trap 2
	ds_load_b64 v[2:3], v2
	s_wait_dscnt 0x0
	v_add_nc_u64_e32 v[48:49], v[48:49], v[52:53]
	s_mov_b32 s41, exec_lo
	s_delay_alu instid0(VALU_DEP_1)
	v_cmpx_lt_u64_e64 v[2:3], v[48:49]
	s_cbranch_execz .LBB4_1040
; %bb.1032:                             ;   in Loop: Header=BB4_977 Depth=3
	s_mov_b32 s44, 0
	s_mov_b32 s73, 0
                                        ; implicit-def: $sgpr45
                                        ; implicit-def: $sgpr72
	s_branch .LBB4_1034
.LBB4_1033:                             ;   in Loop: Header=BB4_1034 Depth=4
	s_or_b32 exec_lo, exec_lo, s75
	s_delay_alu instid0(SALU_CYCLE_1) | instskip(NEXT) | instid1(SALU_CYCLE_1)
	s_and_b32 s74, exec_lo, s76
	s_or_b32 s44, s74, s44
	s_and_not1_b32 s45, s45, exec_lo
	s_and_b32 s74, s72, exec_lo
	s_delay_alu instid0(SALU_CYCLE_1)
	s_or_b32 s45, s45, s74
	s_and_not1_b32 exec_lo, exec_lo, s44
	s_cbranch_execz .LBB4_1038
.LBB4_1034:                             ;   Parent Loop BB4_47 Depth=1
                                        ;     Parent Loop BB4_797 Depth=2
                                        ;       Parent Loop BB4_977 Depth=3
                                        ; =>      This Inner Loop Header: Depth=4
	s_add_co_i32 s73, s73, 1
	s_delay_alu instid0(SALU_CYCLE_1) | instskip(SKIP_1) | instid1(SALU_CYCLE_1)
	s_cmp_lg_u32 s73, 0x2710
	s_cselect_b32 s74, -1, 0
	s_and_b32 vcc_lo, exec_lo, s74
	s_cbranch_vccz .LBB4_1036
; %bb.1035:                             ;   in Loop: Header=BB4_1034 Depth=4
	s_mov_b32 s76, -1
	s_or_b32 s72, s72, exec_lo
	s_and_saveexec_b32 s75, s74
	s_cbranch_execz .LBB4_1033
	s_branch .LBB4_1037
.LBB4_1036:                             ;   in Loop: Header=BB4_1034 Depth=4
	s_trap 2
	ds_load_b64 v[2:3], v2
	s_and_not1_b32 s74, s74, exec_lo
	s_mov_b32 s73, 0
	s_wait_storecnt 0x0
	s_wait_loadcnt_dscnt 0x0
	flat_load_b32 v2, v[2:3] scope:SCOPE_SYS
	s_wait_loadcnt_dscnt 0x0
	global_inv scope:SCOPE_SYS
	v_cmp_eq_u32_e32 vcc_lo, 0, v2
	s_and_b32 s75, vcc_lo, exec_lo
	s_delay_alu instid0(SALU_CYCLE_1)
	s_or_b32 s74, s74, s75
	s_mov_b32 s76, -1
	s_or_b32 s72, s72, exec_lo
	s_and_saveexec_b32 s75, s74
	s_cbranch_execz .LBB4_1033
.LBB4_1037:                             ;   in Loop: Header=BB4_1034 Depth=4
	s_sleep 1
	s_trap 2
	ds_load_b64 v[2:3], v2
	s_wait_dscnt 0x0
	s_and_not1_b32 s72, s72, exec_lo
	v_cmp_ge_u64_e32 vcc_lo, v[2:3], v[48:49]
	s_or_not1_b32 s76, vcc_lo, exec_lo
	s_branch .LBB4_1033
.LBB4_1038:                             ;   in Loop: Header=BB4_977 Depth=3
	s_or_b32 exec_lo, exec_lo, s44
	s_and_saveexec_b32 s44, s45
	s_delay_alu instid0(SALU_CYCLE_1)
	s_xor_b32 s44, exec_lo, s44
	s_cbranch_execz .LBB4_1040
; %bb.1039:                             ;   in Loop: Header=BB4_977 Depth=3
	ds_store_b32 v2, v111
	s_trap 2
.LBB4_1040:                             ;   in Loop: Header=BB4_977 Depth=3
	s_or_b32 exec_lo, exec_lo, s41
	;;#ASMSTART
	s_wakeup
	;;#ASMEND
.LBB4_1041:                             ;   in Loop: Header=BB4_977 Depth=3
	s_or_b32 exec_lo, exec_lo, s17
.LBB4_1042:                             ;   in Loop: Header=BB4_977 Depth=3
	s_and_not1_saveexec_b32 s16, s16
	s_cbranch_execz .LBB4_1044
; %bb.1043:                             ;   in Loop: Header=BB4_977 Depth=3
	;;#ASMSTART
	s_waitcnt lgkmcnt(0) vmcnt(0)
	;;#ASMEND
	s_barrier_signal -1
	s_barrier_wait -1
.LBB4_1044:                             ;   in Loop: Header=BB4_977 Depth=3
	s_or_b32 exec_lo, exec_lo, s16
	v_and_b32_e32 v2, 16, v30
.LBB4_1045:                             ;   in Loop: Header=BB4_977 Depth=3
	s_or_b32 exec_lo, exec_lo, s13
	s_delay_alu instid0(VALU_DEP_1) | instskip(SKIP_1) | instid1(SALU_CYCLE_1)
	v_cmp_ne_u32_e32 vcc_lo, 0, v2
	s_xor_b32 s13, s4, -1
	s_and_b32 s16, vcc_lo, s13
	s_delay_alu instid0(SALU_CYCLE_1)
	s_and_saveexec_b32 s13, s16
	s_cbranch_execz .LBB4_1047
; %bb.1046:                             ;   in Loop: Header=BB4_977 Depth=3
	global_wb scope:SCOPE_SYS
	s_wait_storecnt 0x0
	s_wait_loadcnt_dscnt 0x0
	flat_store_b32 v[38:39], v111 scope:SCOPE_SYS
.LBB4_1047:                             ;   in Loop: Header=BB4_977 Depth=3
	s_wait_xcnt 0x0
	s_or_b32 exec_lo, exec_lo, s13
	v_and_b32_e32 v2, 48, v30
	s_mov_b32 s13, exec_lo
	s_delay_alu instid0(VALU_DEP_1)
	v_cmpx_ne_u32_e32 0, v2
	s_cbranch_execz .LBB4_976
; %bb.1048:                             ;   in Loop: Header=BB4_977 Depth=3
	v_add_nc_u64_e32 v[114:115], 2, v[114:115]
	global_wb scope:SCOPE_SYS
	s_wait_storecnt 0x0
	s_wait_loadcnt_dscnt 0x0
	flat_store_b64 v[32:33], v[114:115] scope:SCOPE_SYS
	s_branch .LBB4_976
.LBB4_1049:                             ;   in Loop: Header=BB4_797 Depth=2
	s_or_b32 exec_lo, exec_lo, s15
.LBB4_1050:                             ;   in Loop: Header=BB4_797 Depth=2
	s_delay_alu instid0(SALU_CYCLE_1)
	s_or_b32 exec_lo, exec_lo, s14
	s_add_co_i32 s13, s20, 1
	s_cmp_eq_u32 s20, s60
	s_cbranch_scc1 .LBB4_1052
; %bb.1051:                             ;   in Loop: Header=BB4_797 Depth=2
	s_mov_b32 s20, s13
	s_branch .LBB4_797
.LBB4_1052:                             ;   in Loop: Header=BB4_47 Depth=1
	v_mul_u64_e32 v[10:11], s[42:43], v[26:27]
	s_delay_alu instid0(VALU_DEP_1) | instskip(NEXT) | instid1(VALU_DEP_1)
	v_sub_nc_u64_e32 v[2:3], v[116:117], v[10:11]
	v_min_i64 v[8:9], v[26:27], v[2:3]
	s_delay_alu instid0(VALU_DEP_1) | instskip(SKIP_1) | instid1(VALU_DEP_2)
	v_max_i32_e32 v20, 0, v8
	v_cmp_lt_i32_e32 vcc_lo, 0, v8
	v_dual_mov_b32 v8, 0 :: v_dual_add_nc_u32 v2, 31, v20
	s_and_b32 s13, s61, vcc_lo
	s_delay_alu instid0(VALU_DEP_1) | instskip(NEXT) | instid1(VALU_DEP_1)
	v_lshrrev_b32_e32 v2, 1, v2
	v_and_b32_e32 v3, 0x3ffffff0, v2
	s_delay_alu instid0(VALU_DEP_1)
	v_dual_mov_b32 v2, 0 :: v_dual_max_i32 v21, s57, v3
	s_and_saveexec_b32 s14, s13
	s_cbranch_execz .LBB4_1190
; %bb.1053:                             ;   in Loop: Header=BB4_47 Depth=1
	v_add_nc_u64_e32 v[2:3], v[10:11], v[118:119]
	v_mov_b32_e32 v8, 0
	s_mov_b32 s17, 1
	s_mov_b32 s16, -1
	s_mov_b32 s15, 0
	s_delay_alu instid0(VALU_DEP_2)
	v_lshlrev_b64_e32 v[10:11], 3, v[2:3]
	s_branch .LBB4_1055
.LBB4_1054:                             ;   in Loop: Header=BB4_1055 Depth=2
	s_wait_xcnt 0x0
	s_or_b32 exec_lo, exec_lo, s13
	v_dual_add_nc_u32 v8, v21, v8 :: v_dual_mov_b32 v2, s17
	s_xor_b32 s13, s16, -1
	s_mov_b32 s16, 0
	s_mov_b32 s17, 2
	s_delay_alu instid0(VALU_DEP_1) | instskip(SKIP_1) | instid1(SALU_CYCLE_1)
	v_cmp_ge_i32_e32 vcc_lo, v8, v20
	s_or_b32 s13, s13, vcc_lo
	s_and_b32 s13, exec_lo, s13
	s_delay_alu instid0(SALU_CYCLE_1) | instskip(NEXT) | instid1(SALU_CYCLE_1)
	s_or_b32 s15, s13, s15
	s_and_not1_b32 exec_lo, exec_lo, s15
	s_cbranch_execz .LBB4_1189
.LBB4_1055:                             ;   Parent Loop BB4_47 Depth=1
                                        ; =>  This Loop Header: Depth=2
                                        ;       Child Loop BB4_1063 Depth 3
                                        ;       Child Loop BB4_1087 Depth 3
	;; [unrolled: 1-line block ×9, first 2 shown]
	s_and_saveexec_b32 s13, s0
	s_cbranch_execz .LBB4_1057
; %bb.1056:                             ;   in Loop: Header=BB4_1055 Depth=2
	s_trap 2
	ds_load_b128 v[12:15], v9
	s_wait_dscnt 0x0
	v_cmp_ne_u64_e32 vcc_lo, 0, v[14:15]
	v_ashrrev_i32_e32 v9, 31, v8
	v_add_nc_u64_e32 v[16:17], v[14:15], v[10:11]
	v_add_nc_u64_e32 v[12:13], v[12:13], v[10:11]
	s_delay_alu instid0(VALU_DEP_3) | instskip(NEXT) | instid1(VALU_DEP_1)
	v_lshlrev_b64_e32 v[2:3], 3, v[8:9]
	v_add_nc_u64_e32 v[16:17], v[16:17], v[2:3]
	s_delay_alu instid0(VALU_DEP_3) | instskip(NEXT) | instid1(VALU_DEP_2)
	v_add_nc_u64_e32 v[2:3], v[12:13], v[2:3]
	v_dual_cndmask_b32 v13, 0, v17 :: v_dual_cndmask_b32 v12, 0, v16
	ds_store_b64 v9, v[2:3]
	ds_store_b64 v9, v[12:13]
.LBB4_1057:                             ;   in Loop: Header=BB4_1055 Depth=2
	s_or_b32 exec_lo, exec_lo, s13
	v_and_b32_e32 v2, 4, v30
	s_mov_b32 s20, exec_lo
	s_delay_alu instid0(VALU_DEP_1)
	v_cmpx_ne_u32_e32 0, v2
	s_cbranch_execz .LBB4_1079
; %bb.1058:                             ;   in Loop: Header=BB4_1055 Depth=2
	v_add_nc_u64_e32 v[12:13], 2, v[114:115]
	s_mov_b32 s41, exec_lo
	s_wait_loadcnt_dscnt 0x1
	s_delay_alu instid0(VALU_DEP_1)
	v_cmpx_lt_u64_e64 v[50:51], v[12:13]
	s_cbranch_execz .LBB4_1070
; %bb.1059:                             ;   in Loop: Header=BB4_1055 Depth=2
	v_and_b32_e32 v2, 64, v30
	s_mov_b32 s44, 0
	s_mov_b32 s74, 0
                                        ; implicit-def: $sgpr45
                                        ; implicit-def: $sgpr72
                                        ; implicit-def: $sgpr73
	s_delay_alu instid0(VALU_DEP_1)
	v_cmp_eq_u32_e32 vcc_lo, 0, v2
	s_branch .LBB4_1063
.LBB4_1060:                             ;   in Loop: Header=BB4_1063 Depth=3
	s_wait_loadcnt_dscnt 0x0
	v_cmp_ge_u64_e64 s13, v[50:51], v[12:13]
	s_or_b32 s77, s77, exec_lo
	s_or_not1_b32 s76, s13, exec_lo
.LBB4_1061:                             ;   in Loop: Header=BB4_1063 Depth=3
	s_or_b32 exec_lo, exec_lo, s79
	s_delay_alu instid0(SALU_CYCLE_1)
	s_and_not1_b32 s13, s73, exec_lo
	s_and_b32 s73, s77, exec_lo
	s_and_not1_b32 s72, s72, exec_lo
	s_and_b32 s76, s76, exec_lo
	s_or_b32 s73, s13, s73
	s_or_b32 s72, s72, s76
.LBB4_1062:                             ;   in Loop: Header=BB4_1063 Depth=3
	s_or_b32 exec_lo, exec_lo, s75
	s_delay_alu instid0(SALU_CYCLE_1) | instskip(NEXT) | instid1(SALU_CYCLE_1)
	s_and_b32 s13, exec_lo, s72
	s_or_b32 s44, s13, s44
	s_and_not1_b32 s13, s45, exec_lo
	s_and_b32 s45, s73, exec_lo
	s_delay_alu instid0(SALU_CYCLE_1)
	s_or_b32 s45, s13, s45
	s_and_not1_b32 exec_lo, exec_lo, s44
	s_cbranch_execz .LBB4_1067
.LBB4_1063:                             ;   Parent Loop BB4_47 Depth=1
                                        ;     Parent Loop BB4_1055 Depth=2
                                        ; =>    This Inner Loop Header: Depth=3
	s_sleep 1
	s_wait_loadcnt_dscnt 0x0
	flat_load_b64 v[50:51], v[32:33] scope:SCOPE_SYS
	s_or_b32 s73, s73, exec_lo
	s_or_b32 s72, s72, exec_lo
                                        ; implicit-def: $vgpr2
	s_wait_xcnt 0x0
	s_and_saveexec_b32 s75, vcc_lo
	s_cbranch_execz .LBB4_1062
; %bb.1064:                             ;   in Loop: Header=BB4_1063 Depth=3
	s_cmp_lt_i32 s74, 0x270f
	s_mov_b32 s76, -1
	s_cselect_b32 s78, -1, 0
	s_cmp_gt_i32 s74, 0x270e
	s_cbranch_scc0 .LBB4_1066
; %bb.1065:                             ;   in Loop: Header=BB4_1063 Depth=3
	s_trap 2
	ds_load_b64 v[2:3], v3
	s_and_not1_b32 s74, s78, exec_lo
	s_mov_b32 s77, 0
	s_wait_storecnt 0x0
	s_wait_loadcnt_dscnt 0x0
	flat_load_b32 v2, v[2:3] scope:SCOPE_SYS
	s_wait_loadcnt_dscnt 0x0
	global_inv scope:SCOPE_SYS
	v_cmp_eq_u32_e64 s13, 0, v2
	s_and_b32 s13, s13, exec_lo
	s_delay_alu instid0(SALU_CYCLE_1)
	s_or_b32 s78, s74, s13
	s_mov_b32 s74, 0
	s_and_saveexec_b32 s79, s78
	s_cbranch_execz .LBB4_1061
	s_branch .LBB4_1060
.LBB4_1066:                             ;   in Loop: Header=BB4_1063 Depth=3
	s_add_co_i32 s74, s74, 1
	s_mov_b32 s77, -1
                                        ; implicit-def: $vgpr2
	s_and_saveexec_b32 s79, s78
	s_cbranch_execz .LBB4_1061
	s_branch .LBB4_1060
.LBB4_1067:                             ;   in Loop: Header=BB4_1055 Depth=2
	s_or_b32 exec_lo, exec_lo, s44
	s_xor_b32 s13, s45, -1
	s_delay_alu instid0(SALU_CYCLE_1) | instskip(NEXT) | instid1(SALU_CYCLE_1)
	s_and_saveexec_b32 s44, s13
	s_xor_b32 s13, exec_lo, s44
	s_cbranch_execz .LBB4_1069
; %bb.1068:                             ;   in Loop: Header=BB4_1055 Depth=2
	v_or_b32_e32 v30, 64, v30
	s_wait_storecnt 0x0
	s_wait_loadcnt_dscnt 0x0
	ds_store_b32 v3, v2
	s_trap 2
.LBB4_1069:                             ;   in Loop: Header=BB4_1055 Depth=2
	s_or_b32 exec_lo, exec_lo, s13
.LBB4_1070:                             ;   in Loop: Header=BB4_1055 Depth=2
	s_delay_alu instid0(SALU_CYCLE_1)
	s_or_b32 exec_lo, exec_lo, s41
	v_and_b32_e32 v2, 0x100, v30
	v_and_b32_e32 v112, 7, v114
	s_mov_b32 s13, -1
	s_mov_b32 s41, exec_lo
	;;#ASMSTART
	s_wakeup
	;;#ASMEND
                                        ; implicit-def: $vgpr14_vgpr15
	v_cmpx_ne_u32_e32 0, v2
	s_cbranch_execz .LBB4_1074
; %bb.1071:                             ;   in Loop: Header=BB4_1055 Depth=2
	v_mad_nc_u64_u32 v[16:17], v112, 24, v[6:7]
	s_mov_b32 s44, exec_lo
                                        ; implicit-def: $vgpr14_vgpr15
	flat_load_b32 v2, v[16:17]
	s_wait_loadcnt_dscnt 0x0
	v_cmp_ne_u32_e32 vcc_lo, 1, v2
	s_wait_xcnt 0x0
	v_cmpx_eq_u32_e32 1, v2
	s_cbranch_execz .LBB4_1073
; %bb.1072:                             ;   in Loop: Header=BB4_1055 Depth=2
	flat_load_b32 v2, v[16:17] offset:4 scope:SCOPE_SYS
	s_wait_loadcnt_dscnt 0x0
	v_ashrrev_i32_e32 v3, 31, v2
	s_delay_alu instid0(VALU_DEP_1)
	v_lshrrev_b64 v[14:15], 3, v[2:3]
.LBB4_1073:                             ;   in Loop: Header=BB4_1055 Depth=2
	s_wait_xcnt 0x0
	s_or_b32 exec_lo, exec_lo, s44
	s_delay_alu instid0(SALU_CYCLE_1)
	s_or_not1_b32 s13, vcc_lo, exec_lo
.LBB4_1074:                             ;   in Loop: Header=BB4_1055 Depth=2
	s_or_b32 exec_lo, exec_lo, s41
	s_and_saveexec_b32 s41, s13
; %bb.1075:                             ;   in Loop: Header=BB4_1055 Depth=2
	v_mul_u64_e32 v[14:15], v[112:113], v[34:35]
; %bb.1076:                             ;   in Loop: Header=BB4_1055 Depth=2
	s_or_b32 exec_lo, exec_lo, s41
	v_and_b32_e32 v9, 0x2000, v30
	s_delay_alu instid0(VALU_DEP_2)
	v_lshl_add_u64 v[2:3], v[14:15], 3, v[36:37]
	s_mov_b32 s13, exec_lo
	ds_store_b64 v0, v[2:3] offset:720
	v_cmpx_ne_u32_e32 0, v9
	s_cbranch_execz .LBB4_1078
; %bb.1077:                             ;   in Loop: Header=BB4_1055 Depth=2
	ds_load_b64 v[2:3], v0 offset:872
	s_wait_dscnt 0x0
	v_add_nc_u64_e32 v[2:3], 1, v[2:3]
	ds_store_b64 v0, v[2:3] offset:872
.LBB4_1078:                             ;   in Loop: Header=BB4_1055 Depth=2
	s_or_b32 exec_lo, exec_lo, s13
	v_mov_b64_e32 v[114:115], v[12:13]
.LBB4_1079:                             ;   in Loop: Header=BB4_1055 Depth=2
	s_or_b32 exec_lo, exec_lo, s20
	s_and_saveexec_b32 s13, s2
	s_cbranch_execz .LBB4_1098
; %bb.1080:                             ;   in Loop: Header=BB4_1055 Depth=2
	s_and_saveexec_b32 s20, s3
	s_delay_alu instid0(SALU_CYCLE_1)
	s_xor_b32 s20, exec_lo, s20
	s_cbranch_execz .LBB4_1095
; %bb.1081:                             ;   in Loop: Header=BB4_1055 Depth=2
	s_and_saveexec_b32 s41, s6
	s_cbranch_execz .LBB4_1094
; %bb.1082:                             ;   in Loop: Header=BB4_1055 Depth=2
	s_mov_b32 s45, exec_lo
	s_mov_b32 s44, exec_lo
	v_mbcnt_lo_u32_b32 v2, s45, 0
	global_wb scope:SCOPE_DEV
	s_wait_storecnt 0x0
	s_wait_loadcnt_dscnt 0x0
	global_inv scope:SCOPE_DEV
	v_cmpx_eq_u32_e32 0, v2
	s_cbranch_execz .LBB4_1084
; %bb.1083:                             ;   in Loop: Header=BB4_1055 Depth=2
	s_bcnt1_i32_b32 s45, s45
	s_delay_alu instid0(SALU_CYCLE_1)
	v_mov_b32_e32 v112, s45
	s_wait_loadcnt 0x0
	ds_add_u64 v2, v[112:113]
	s_trap 2
.LBB4_1084:                             ;   in Loop: Header=BB4_1055 Depth=2
	s_or_b32 exec_lo, exec_lo, s44
	s_trap 2
	ds_load_b64 v[2:3], v2
	s_wait_dscnt 0x0
	v_add_nc_u64_e32 v[48:49], v[48:49], v[52:53]
	s_mov_b32 s44, exec_lo
	s_delay_alu instid0(VALU_DEP_1)
	v_cmpx_lt_u64_e64 v[2:3], v[48:49]
	s_cbranch_execz .LBB4_1093
; %bb.1085:                             ;   in Loop: Header=BB4_1055 Depth=2
	s_mov_b32 s45, 0
	s_mov_b32 s74, 0
                                        ; implicit-def: $sgpr72
                                        ; implicit-def: $sgpr73
	s_branch .LBB4_1087
.LBB4_1086:                             ;   in Loop: Header=BB4_1087 Depth=3
	s_or_b32 exec_lo, exec_lo, s76
	s_delay_alu instid0(SALU_CYCLE_1) | instskip(NEXT) | instid1(SALU_CYCLE_1)
	s_and_b32 s75, exec_lo, s77
	s_or_b32 s45, s75, s45
	s_and_not1_b32 s72, s72, exec_lo
	s_and_b32 s75, s73, exec_lo
	s_delay_alu instid0(SALU_CYCLE_1)
	s_or_b32 s72, s72, s75
	s_and_not1_b32 exec_lo, exec_lo, s45
	s_cbranch_execz .LBB4_1091
.LBB4_1087:                             ;   Parent Loop BB4_47 Depth=1
                                        ;     Parent Loop BB4_1055 Depth=2
                                        ; =>    This Inner Loop Header: Depth=3
	s_add_co_i32 s74, s74, 1
	s_delay_alu instid0(SALU_CYCLE_1) | instskip(SKIP_1) | instid1(SALU_CYCLE_1)
	s_cmp_lg_u32 s74, 0x2710
	s_cselect_b32 s75, -1, 0
	s_and_b32 vcc_lo, exec_lo, s75
	s_cbranch_vccz .LBB4_1089
; %bb.1088:                             ;   in Loop: Header=BB4_1087 Depth=3
	s_mov_b32 s77, -1
	s_or_b32 s73, s73, exec_lo
	s_and_saveexec_b32 s76, s75
	s_cbranch_execz .LBB4_1086
	s_branch .LBB4_1090
.LBB4_1089:                             ;   in Loop: Header=BB4_1087 Depth=3
	s_trap 2
	ds_load_b64 v[2:3], v2
	s_and_not1_b32 s75, s75, exec_lo
	s_mov_b32 s74, 0
	s_wait_loadcnt_dscnt 0x0
	flat_load_b32 v2, v[2:3] scope:SCOPE_SYS
	s_wait_loadcnt_dscnt 0x0
	global_inv scope:SCOPE_SYS
	v_cmp_eq_u32_e32 vcc_lo, 0, v2
	s_and_b32 s76, vcc_lo, exec_lo
	s_delay_alu instid0(SALU_CYCLE_1)
	s_or_b32 s75, s75, s76
	s_mov_b32 s77, -1
	s_or_b32 s73, s73, exec_lo
	s_and_saveexec_b32 s76, s75
	s_cbranch_execz .LBB4_1086
.LBB4_1090:                             ;   in Loop: Header=BB4_1087 Depth=3
	s_sleep 1
	s_trap 2
	ds_load_b64 v[2:3], v2
	s_wait_dscnt 0x0
	s_and_not1_b32 s73, s73, exec_lo
	v_cmp_ge_u64_e32 vcc_lo, v[2:3], v[48:49]
	s_or_not1_b32 s77, vcc_lo, exec_lo
	s_branch .LBB4_1086
.LBB4_1091:                             ;   in Loop: Header=BB4_1055 Depth=2
	s_or_b32 exec_lo, exec_lo, s45
	s_and_saveexec_b32 s45, s72
	s_delay_alu instid0(SALU_CYCLE_1)
	s_xor_b32 s45, exec_lo, s45
	s_cbranch_execz .LBB4_1093
; %bb.1092:                             ;   in Loop: Header=BB4_1055 Depth=2
	ds_store_b32 v2, v111
	s_trap 2
.LBB4_1093:                             ;   in Loop: Header=BB4_1055 Depth=2
	s_or_b32 exec_lo, exec_lo, s44
	;;#ASMSTART
	s_wakeup
	;;#ASMEND
.LBB4_1094:                             ;   in Loop: Header=BB4_1055 Depth=2
	s_or_b32 exec_lo, exec_lo, s41
.LBB4_1095:                             ;   in Loop: Header=BB4_1055 Depth=2
	s_and_not1_saveexec_b32 s20, s20
	s_cbranch_execz .LBB4_1097
; %bb.1096:                             ;   in Loop: Header=BB4_1055 Depth=2
	global_wb scope:SCOPE_DEV
	s_wait_storecnt 0x0
	s_wait_loadcnt_dscnt 0x0
	global_inv scope:SCOPE_DEV
	s_barrier_signal -1
	s_barrier_wait -1
.LBB4_1097:                             ;   in Loop: Header=BB4_1055 Depth=2
	s_or_b32 exec_lo, exec_lo, s20
.LBB4_1098:                             ;   in Loop: Header=BB4_1055 Depth=2
	s_delay_alu instid0(SALU_CYCLE_1) | instskip(SKIP_4) | instid1(VALU_DEP_1)
	s_or_b32 exec_lo, exec_lo, s13
	s_trap 2
	ds_load_b32 v9, v2
	v_and_b32_e32 v2, 0x4000, v30
	s_xor_b32 s13, s1, -1
	v_cmp_ne_u32_e32 vcc_lo, 0, v2
	s_and_b32 s20, s13, vcc_lo
	s_delay_alu instid0(SALU_CYCLE_1)
	s_and_saveexec_b32 s13, s20
	s_cbranch_execz .LBB4_1117
; %bb.1099:                             ;   in Loop: Header=BB4_1055 Depth=2
	s_and_saveexec_b32 s20, s3
	s_delay_alu instid0(SALU_CYCLE_1)
	s_xor_b32 s20, exec_lo, s20
	s_cbranch_execz .LBB4_1114
; %bb.1100:                             ;   in Loop: Header=BB4_1055 Depth=2
	s_and_saveexec_b32 s41, s6
	s_cbranch_execz .LBB4_1113
; %bb.1101:                             ;   in Loop: Header=BB4_1055 Depth=2
	s_mov_b32 s45, exec_lo
	s_mov_b32 s44, exec_lo
	v_mbcnt_lo_u32_b32 v2, s45, 0
	global_wb scope:SCOPE_DEV
	s_wait_storecnt 0x0
	s_wait_loadcnt_dscnt 0x0
	global_inv scope:SCOPE_DEV
	v_cmpx_eq_u32_e32 0, v2
	s_cbranch_execz .LBB4_1103
; %bb.1102:                             ;   in Loop: Header=BB4_1055 Depth=2
	s_bcnt1_i32_b32 s45, s45
	s_delay_alu instid0(SALU_CYCLE_1)
	v_mov_b32_e32 v112, s45
	s_wait_loadcnt 0x0
	ds_add_u64 v2, v[112:113]
	s_trap 2
.LBB4_1103:                             ;   in Loop: Header=BB4_1055 Depth=2
	s_or_b32 exec_lo, exec_lo, s44
	s_trap 2
	ds_load_b64 v[2:3], v2
	s_wait_dscnt 0x0
	v_add_nc_u64_e32 v[48:49], v[48:49], v[52:53]
	s_mov_b32 s44, exec_lo
	s_delay_alu instid0(VALU_DEP_1)
	v_cmpx_lt_u64_e64 v[2:3], v[48:49]
	s_cbranch_execz .LBB4_1112
; %bb.1104:                             ;   in Loop: Header=BB4_1055 Depth=2
	s_mov_b32 s45, 0
	s_mov_b32 s74, 0
                                        ; implicit-def: $sgpr72
                                        ; implicit-def: $sgpr73
	s_branch .LBB4_1106
.LBB4_1105:                             ;   in Loop: Header=BB4_1106 Depth=3
	s_or_b32 exec_lo, exec_lo, s76
	s_delay_alu instid0(SALU_CYCLE_1) | instskip(NEXT) | instid1(SALU_CYCLE_1)
	s_and_b32 s75, exec_lo, s77
	s_or_b32 s45, s75, s45
	s_and_not1_b32 s72, s72, exec_lo
	s_and_b32 s75, s73, exec_lo
	s_delay_alu instid0(SALU_CYCLE_1)
	s_or_b32 s72, s72, s75
	s_and_not1_b32 exec_lo, exec_lo, s45
	s_cbranch_execz .LBB4_1110
.LBB4_1106:                             ;   Parent Loop BB4_47 Depth=1
                                        ;     Parent Loop BB4_1055 Depth=2
                                        ; =>    This Inner Loop Header: Depth=3
	s_add_co_i32 s74, s74, 1
	s_delay_alu instid0(SALU_CYCLE_1) | instskip(SKIP_1) | instid1(SALU_CYCLE_1)
	s_cmp_lg_u32 s74, 0x2710
	s_cselect_b32 s75, -1, 0
	s_and_b32 vcc_lo, exec_lo, s75
	s_cbranch_vccz .LBB4_1108
; %bb.1107:                             ;   in Loop: Header=BB4_1106 Depth=3
	s_mov_b32 s77, -1
	s_or_b32 s73, s73, exec_lo
	s_and_saveexec_b32 s76, s75
	s_cbranch_execz .LBB4_1105
	s_branch .LBB4_1109
.LBB4_1108:                             ;   in Loop: Header=BB4_1106 Depth=3
	s_trap 2
	ds_load_b64 v[2:3], v2
	s_and_not1_b32 s75, s75, exec_lo
	s_mov_b32 s74, 0
	s_wait_loadcnt_dscnt 0x0
	flat_load_b32 v2, v[2:3] scope:SCOPE_SYS
	s_wait_loadcnt_dscnt 0x0
	global_inv scope:SCOPE_SYS
	v_cmp_eq_u32_e32 vcc_lo, 0, v2
	s_and_b32 s76, vcc_lo, exec_lo
	s_delay_alu instid0(SALU_CYCLE_1)
	s_or_b32 s75, s75, s76
	s_mov_b32 s77, -1
	s_or_b32 s73, s73, exec_lo
	s_and_saveexec_b32 s76, s75
	s_cbranch_execz .LBB4_1105
.LBB4_1109:                             ;   in Loop: Header=BB4_1106 Depth=3
	s_sleep 1
	s_trap 2
	ds_load_b64 v[2:3], v2
	s_wait_dscnt 0x0
	s_and_not1_b32 s73, s73, exec_lo
	v_cmp_ge_u64_e32 vcc_lo, v[2:3], v[48:49]
	s_or_not1_b32 s77, vcc_lo, exec_lo
	s_branch .LBB4_1105
.LBB4_1110:                             ;   in Loop: Header=BB4_1055 Depth=2
	s_or_b32 exec_lo, exec_lo, s45
	s_and_saveexec_b32 s45, s72
	s_delay_alu instid0(SALU_CYCLE_1)
	s_xor_b32 s45, exec_lo, s45
	s_cbranch_execz .LBB4_1112
; %bb.1111:                             ;   in Loop: Header=BB4_1055 Depth=2
	ds_store_b32 v2, v111
	s_trap 2
.LBB4_1112:                             ;   in Loop: Header=BB4_1055 Depth=2
	s_or_b32 exec_lo, exec_lo, s44
	;;#ASMSTART
	s_wakeup
	;;#ASMEND
.LBB4_1113:                             ;   in Loop: Header=BB4_1055 Depth=2
	s_or_b32 exec_lo, exec_lo, s41
.LBB4_1114:                             ;   in Loop: Header=BB4_1055 Depth=2
	s_and_not1_saveexec_b32 s20, s20
	s_cbranch_execz .LBB4_1116
; %bb.1115:                             ;   in Loop: Header=BB4_1055 Depth=2
	global_wb scope:SCOPE_DEV
	s_wait_storecnt 0x0
	s_wait_loadcnt_dscnt 0x0
	global_inv scope:SCOPE_DEV
	s_barrier_signal -1
	s_barrier_wait -1
.LBB4_1116:                             ;   in Loop: Header=BB4_1055 Depth=2
	s_or_b32 exec_lo, exec_lo, s20
.LBB4_1117:                             ;   in Loop: Header=BB4_1055 Depth=2
	s_delay_alu instid0(SALU_CYCLE_1) | instskip(SKIP_3) | instid1(VALU_DEP_1)
	s_or_b32 exec_lo, exec_lo, s13
	s_trap 2
	ds_load_b64 v[12:13], v2
	v_sub_nc_u32_e32 v2, v20, v8
	v_min_i32_e32 v21, v21, v2
	s_wait_dscnt 0x0
	v_cmp_eq_u64_e32 vcc_lo, 0, v[12:13]
	s_cbranch_vccnz .LBB4_1125
; %bb.1118:                             ;   in Loop: Header=BB4_1055 Depth=2
	s_trap 2
	ds_load_b64 v[14:15], v2
	s_wait_dscnt 0x0
	v_cmp_eq_u64_e32 vcc_lo, 0, v[14:15]
	s_cbranch_vccnz .LBB4_1125
; %bb.1119:                             ;   in Loop: Header=BB4_1055 Depth=2
	s_mov_b32 s13, -1
	s_and_saveexec_b32 s20, s10
	s_cbranch_execz .LBB4_1121
; %bb.1120:                             ;   in Loop: Header=BB4_1055 Depth=2
	ds_load_b32 v2, v0 offset:720
	s_wait_dscnt 0x0
	v_and_b32_e32 v2, 15, v2
	s_delay_alu instid0(VALU_DEP_1)
	v_cmp_eq_u32_e32 vcc_lo, 0, v2
	s_or_not1_b32 s13, vcc_lo, exec_lo
.LBB4_1121:                             ;   in Loop: Header=BB4_1055 Depth=2
	s_or_b32 exec_lo, exec_lo, s20
	s_and_saveexec_b32 s20, s7
	s_cbranch_execz .LBB4_1123
; %bb.1122:                             ;   in Loop: Header=BB4_1055 Depth=2
	ds_load_b32 v2, v0 offset:784
	s_wait_dscnt 0x0
	v_and_b32_e32 v2, 15, v2
	s_delay_alu instid0(VALU_DEP_1) | instskip(SKIP_3) | instid1(SALU_CYCLE_1)
	v_cmp_eq_u32_e32 vcc_lo, 0, v2
	s_and_b32 s41, s13, vcc_lo
	s_and_not1_b32 s13, s13, exec_lo
	s_and_b32 s41, s41, exec_lo
	s_or_b32 s13, s13, s41
.LBB4_1123:                             ;   in Loop: Header=BB4_1055 Depth=2
	s_or_b32 exec_lo, exec_lo, s20
	v_cmp_eq_u32_e32 vcc_lo, 0, v9
	s_xor_b32 s13, s13, -1
	s_mov_b32 s41, -1
	v_cndmask_b32_e64 v3, 0, 1, s13
	v_dual_mov_b32 v18, 0 :: v_dual_cndmask_b32 v2, 0, v21, vcc_lo
	s_delay_alu instid0(VALU_DEP_2) | instskip(NEXT) | instid1(VALU_DEP_2)
	v_cmp_ne_u32_e32 vcc_lo, 0, v3
	v_lshlrev_b32_e32 v9, 3, v2
	s_cbranch_vccz .LBB4_1130
; %bb.1124:                             ;   in Loop: Header=BB4_1055 Depth=2
	v_mov_b32_e32 v19, v0
	s_and_saveexec_b32 s13, s41
	s_cbranch_execnz .LBB4_1141
	s_branch .LBB4_1149
.LBB4_1125:                             ;   in Loop: Header=BB4_1055 Depth=2
	s_mov_b32 s13, 0
	s_and_saveexec_b32 s20, s2
	s_cbranch_execnz .LBB4_1150
.LBB4_1126:                             ;   in Loop: Header=BB4_1055 Depth=2
	s_or_b32 exec_lo, exec_lo, s20
	s_and_saveexec_b32 s20, s12
	s_delay_alu instid0(SALU_CYCLE_1)
	s_xor_b32 s20, exec_lo, s20
	s_cbranch_execz .LBB4_1168
.LBB4_1127:                             ;   in Loop: Header=BB4_1055 Depth=2
	v_and_b32_e32 v2, 16, v30
	s_delay_alu instid0(VALU_DEP_1) | instskip(SKIP_1) | instid1(SALU_CYCLE_1)
	v_cmp_ne_u32_e32 vcc_lo, 0, v2
	s_and_b32 s41, vcc_lo, s13
	s_and_saveexec_b32 s13, s41
	s_cbranch_execz .LBB4_1129
; %bb.1128:                             ;   in Loop: Header=BB4_1055 Depth=2
	global_wb scope:SCOPE_SYS
	s_wait_storecnt 0x0
	s_wait_loadcnt_dscnt 0x0
	global_inv scope:SCOPE_SYS
.LBB4_1129:                             ;   in Loop: Header=BB4_1055 Depth=2
	s_or_b32 exec_lo, exec_lo, s13
	s_and_not1_saveexec_b32 s13, s20
	s_cbranch_execz .LBB4_1187
	s_branch .LBB4_1169
.LBB4_1130:                             ;   in Loop: Header=BB4_1055 Depth=2
	s_delay_alu instid0(VALU_DEP_1) | instskip(SKIP_1) | instid1(VALU_DEP_1)
	v_ashrrev_i32_e32 v3, 31, v9
	s_mov_b32 s13, exec_lo
	v_lshrrev_b32_e32 v3, 21, v3
	s_delay_alu instid0(VALU_DEP_1) | instskip(NEXT) | instid1(VALU_DEP_1)
	v_add_nc_u32_e32 v3, v9, v3
	v_ashrrev_i32_e32 v22, 11, v3
	s_delay_alu instid0(VALU_DEP_1) | instskip(NEXT) | instid1(VALU_DEP_1)
	v_sub_nc_u32_e32 v23, v22, v110
	v_cmpx_lt_i32_e32 0, v23
	s_cbranch_execz .LBB4_1134
; %bb.1131:                             ;   in Loop: Header=BB4_1055 Depth=2
	v_mov_b64_e32 v[16:17], v[14:15]
	v_mov_b64_e32 v[18:19], v[12:13]
	s_mov_b32 s20, 0
.LBB4_1132:                             ;   Parent Loop BB4_47 Depth=1
                                        ;     Parent Loop BB4_1055 Depth=2
                                        ; =>    This Inner Loop Header: Depth=3
	s_delay_alu instid0(VALU_DEP_1)
	v_add_nc_u64_e32 v[28:29], v[86:87], v[18:19]
	v_sub_nc_u32_e32 v23, v23, v52
	v_add_nc_u64_e32 v[18:19], v[18:19], v[68:69]
	s_clause 0x3
	global_load_b128 v[116:119], v[28:29], off th:TH_LOAD_NT
	global_load_b128 v[40:43], v[28:29], off offset:512 th:TH_LOAD_NT
	global_load_b128 v[44:47], v[28:29], off offset:1024 th:TH_LOAD_NT
	;; [unrolled: 1-line block ×3, first 2 shown]
	s_wait_xcnt 0x0
	v_add_nc_u64_e32 v[28:29], v[86:87], v[16:17]
	v_cmp_gt_i32_e32 vcc_lo, 1, v23
	v_add_nc_u64_e32 v[16:17], v[16:17], v[68:69]
	s_wait_loadcnt 0x3
	global_store_b128 v[28:29], v[116:119], off th:TH_STORE_NT
	s_wait_loadcnt 0x2
	global_store_b128 v[28:29], v[40:43], off offset:512 th:TH_STORE_NT
	s_wait_loadcnt 0x1
	global_store_b128 v[28:29], v[44:47], off offset:1024 th:TH_STORE_NT
	;; [unrolled: 2-line block ×3, first 2 shown]
	s_or_b32 s20, vcc_lo, s20
	s_wait_xcnt 0x0
	s_and_not1_b32 exec_lo, exec_lo, s20
	s_cbranch_execnz .LBB4_1132
; %bb.1133:                             ;   in Loop: Header=BB4_1055 Depth=2
	s_or_b32 exec_lo, exec_lo, s20
.LBB4_1134:                             ;   in Loop: Header=BB4_1055 Depth=2
	s_delay_alu instid0(SALU_CYCLE_1) | instskip(SKIP_3) | instid1(VALU_DEP_1)
	s_or_b32 exec_lo, exec_lo, s13
	v_dual_lshlrev_b32 v22, 11, v22 :: v_dual_mov_b32 v18, 0
	s_mov_b32 s41, 0
	s_mov_b32 s20, exec_lo
                                        ; implicit-def: $vgpr19
	v_cmpx_ne_u32_e64 v9, v22
	s_cbranch_execz .LBB4_1140
; %bb.1135:                             ;   in Loop: Header=BB4_1055 Depth=2
	v_dual_lshlrev_b32 v3, 5, v23 :: v_dual_sub_nc_u32 v17, v9, v22
	s_mov_b32 s41, exec_lo
	s_delay_alu instid0(VALU_DEP_1) | instskip(NEXT) | instid1(VALU_DEP_1)
	v_dual_sub_nc_u32 v3, v109, v3 :: v_dual_ashrrev_i32 v18, 31, v17
	v_dual_ashrrev_i32 v16, 31, v3 :: v_dual_lshrrev_b32 v18, 23, v18
	s_delay_alu instid0(VALU_DEP_1) | instskip(NEXT) | instid1(VALU_DEP_1)
	v_lshrrev_b32_e32 v16, 27, v16
	v_add_nc_u32_e32 v16, v3, v16
	s_delay_alu instid0(VALU_DEP_1) | instskip(NEXT) | instid1(VALU_DEP_1)
	v_and_b32_e32 v19, 0xffffffe0, v16
	v_dual_add_nc_u32 v28, v17, v18 :: v_dual_sub_nc_u32 v19, v3, v19
	s_delay_alu instid0(VALU_DEP_1) | instskip(SKIP_1) | instid1(VALU_DEP_3)
	v_and_b32_e32 v18, 0xfffffe00, v28
	v_ashrrev_i32_e32 v3, 5, v16
	v_dual_ashrrev_i32 v28, 9, v28 :: v_dual_lshlrev_b32 v16, 4, v19
	s_delay_alu instid0(VALU_DEP_3) | instskip(NEXT) | instid1(VALU_DEP_2)
	v_sub_nc_u32_e32 v23, v17, v18
	v_lshl_add_u32 v16, v3, 9, v16
	s_delay_alu instid0(VALU_DEP_2) | instskip(NEXT) | instid1(VALU_DEP_4)
	v_cmp_lt_i32_e32 vcc_lo, 15, v23
	v_add_co_ci_u32_e64 v28, null, 0, v28, vcc_lo
	s_delay_alu instid0(VALU_DEP_1) | instskip(NEXT) | instid1(VALU_DEP_1)
	v_dual_sub_nc_u32 v117, v17, v16 :: v_dual_sub_nc_u32 v116, v28, v3
	v_cmpx_lt_i32_e32 15, v117
	s_cbranch_execz .LBB4_1139
; %bb.1136:                             ;   in Loop: Header=BB4_1055 Depth=2
	v_add_nc_u32_e32 v16, v16, v22
	s_mov_b32 s44, 0
	s_delay_alu instid0(VALU_DEP_1)
	v_ashrrev_i32_e32 v17, 31, v16
.LBB4_1137:                             ;   Parent Loop BB4_47 Depth=1
                                        ;     Parent Loop BB4_1055 Depth=2
                                        ; =>    This Inner Loop Header: Depth=3
	s_delay_alu instid0(VALU_DEP_1) | instskip(SKIP_1) | instid1(VALU_DEP_1)
	v_add_nc_u64_e32 v[28:29], v[12:13], v[16:17]
	v_dual_sub_nc_u32 v117, v117, v70 :: v_dual_sub_nc_u32 v116, v116, v52
	v_cmp_gt_i32_e64 s13, 16, v117
	global_load_b128 v[40:43], v[28:29], off th:TH_LOAD_NT
	s_wait_xcnt 0x0
	v_add_nc_u64_e32 v[28:29], v[14:15], v[16:17]
	v_add_nc_u64_e32 v[16:17], v[16:17], v[70:71]
	s_or_b32 s44, s13, s44
	s_wait_loadcnt 0x0
	global_store_b128 v[28:29], v[40:43], off th:TH_STORE_NT
	s_wait_xcnt 0x0
	s_and_not1_b32 exec_lo, exec_lo, s44
	s_cbranch_execnz .LBB4_1137
; %bb.1138:                             ;   in Loop: Header=BB4_1055 Depth=2
	s_or_b32 exec_lo, exec_lo, s44
.LBB4_1139:                             ;   in Loop: Header=BB4_1055 Depth=2
	s_delay_alu instid0(SALU_CYCLE_1) | instskip(NEXT) | instid1(VALU_DEP_2)
	s_or_b32 exec_lo, exec_lo, s41
	v_cmp_lt_i32_e64 s13, 0, v116
	s_delay_alu instid0(VALU_DEP_1) | instskip(NEXT) | instid1(VALU_DEP_1)
	v_dual_cndmask_b32 v17, 0, v52, s13 :: v_dual_bitop2_b32 v3, 8, v9 bitop3:0x40
	v_dual_cndmask_b32 v9, v23, v3 :: v_dual_sub_nc_u32 v16, v23, v3
	s_delay_alu instid0(VALU_DEP_1) | instskip(NEXT) | instid1(VALU_DEP_3)
	v_cndmask_b32_e32 v3, 0, v16, vcc_lo
	v_sub_nc_u32_e32 v16, v17, v116
	s_delay_alu instid0(VALU_DEP_3) | instskip(NEXT) | instid1(VALU_DEP_3)
	v_cmp_ne_u32_e32 vcc_lo, 0, v9
	v_add3_u32 v18, v18, v22, v3
	s_delay_alu instid0(VALU_DEP_3)
	v_lshl_add_u32 v19, v16, 5, v19
	s_and_b32 s41, vcc_lo, exec_lo
.LBB4_1140:                             ;   in Loop: Header=BB4_1055 Depth=2
	s_or_b32 exec_lo, exec_lo, s20
	s_and_saveexec_b32 s13, s41
	s_cbranch_execz .LBB4_1149
.LBB4_1141:                             ;   in Loop: Header=BB4_1055 Depth=2
	s_delay_alu instid0(VALU_DEP_1) | instskip(SKIP_1) | instid1(VALU_DEP_1)
	v_dual_ashrrev_i32 v3, 31, v19 :: v_dual_ashrrev_i32 v16, 31, v9
	s_mov_b32 s20, exec_lo
	v_dual_lshrrev_b32 v3, 27, v3 :: v_dual_lshrrev_b32 v17, 23, v16
	s_delay_alu instid0(VALU_DEP_1) | instskip(NEXT) | instid1(VALU_DEP_1)
	v_dual_add_nc_u32 v16, v19, v3 :: v_dual_add_nc_u32 v3, v9, v17
	v_dual_ashrrev_i32 v22, 5, v16 :: v_dual_ashrrev_i32 v116, 9, v3
	s_delay_alu instid0(VALU_DEP_1) | instskip(NEXT) | instid1(VALU_DEP_1)
	v_sub_nc_u32_e32 v23, v116, v22
	v_cmpx_lt_i32_e32 0, v23
	s_cbranch_execz .LBB4_1145
; %bb.1142:                             ;   in Loop: Header=BB4_1055 Depth=2
	v_and_b32_e32 v3, 0x1fffffe0, v16
	s_mov_b32 s41, 0
	s_delay_alu instid0(VALU_DEP_1) | instskip(NEXT) | instid1(VALU_DEP_1)
	v_dual_lshlrev_b32 v16, 9, v22 :: v_dual_sub_nc_u32 v3, v19, v3
	v_lshlrev_b32_e32 v3, 3, v3
	s_delay_alu instid0(VALU_DEP_1) | instskip(NEXT) | instid1(VALU_DEP_1)
	v_add3_u32 v16, v3, v18, v16
	v_ashrrev_i32_e32 v17, 31, v16
.LBB4_1143:                             ;   Parent Loop BB4_47 Depth=1
                                        ;     Parent Loop BB4_1055 Depth=2
                                        ; =>    This Inner Loop Header: Depth=3
	s_delay_alu instid0(VALU_DEP_1)
	v_add_nc_u64_e32 v[28:29], v[12:13], v[16:17]
	v_sub_nc_u32_e32 v23, v23, v52
	v_add_nc_u64_e32 v[40:41], v[14:15], v[16:17]
	v_add_nc_u64_e32 v[16:17], v[16:17], v[70:71]
	s_clause 0x1
	flat_load_b64 v[118:119], v[28:29] th:TH_LOAD_NT
	flat_load_b64 v[28:29], v[28:29] offset:256 th:TH_LOAD_NT
	v_cmp_gt_i32_e32 vcc_lo, 1, v23
	s_wait_loadcnt_dscnt 0x101
	flat_store_b64 v[40:41], v[118:119] th:TH_STORE_NT
	s_wait_loadcnt_dscnt 0x1
	flat_store_b64 v[40:41], v[28:29] offset:256 th:TH_STORE_NT
	s_or_b32 s41, vcc_lo, s41
	s_wait_xcnt 0x0
	s_and_not1_b32 exec_lo, exec_lo, s41
	s_cbranch_execnz .LBB4_1143
; %bb.1144:                             ;   in Loop: Header=BB4_1055 Depth=2
	s_or_b32 exec_lo, exec_lo, s41
.LBB4_1145:                             ;   in Loop: Header=BB4_1055 Depth=2
	s_delay_alu instid0(SALU_CYCLE_1) | instskip(SKIP_1) | instid1(VALU_DEP_1)
	s_or_b32 exec_lo, exec_lo, s20
	v_lshlrev_b32_e32 v16, 9, v116
	v_cmp_ne_u32_e32 vcc_lo, v9, v16
	s_and_b32 exec_lo, exec_lo, vcc_lo
	s_cbranch_execz .LBB4_1149
; %bb.1146:                             ;   in Loop: Header=BB4_1055 Depth=2
	v_dual_lshlrev_b32 v3, 5, v22 :: v_dual_lshlrev_b32 v17, 5, v23
	s_delay_alu instid0(VALU_DEP_1) | instskip(NEXT) | instid1(VALU_DEP_1)
	v_sub_nc_u32_e32 v3, v19, v3
	v_sub_nc_u32_e32 v3, v3, v17
	s_delay_alu instid0(VALU_DEP_1) | instskip(NEXT) | instid1(VALU_DEP_1)
	v_ashrrev_i32_e32 v17, 31, v3
	v_lshrrev_b32_e32 v17, 27, v17
	s_delay_alu instid0(VALU_DEP_1) | instskip(NEXT) | instid1(VALU_DEP_1)
	v_add_nc_u32_e32 v17, v3, v17
	v_and_b32_e32 v19, 0x1fffffe0, v17
	s_delay_alu instid0(VALU_DEP_1) | instskip(NEXT) | instid1(VALU_DEP_1)
	v_dual_lshlrev_b32 v17, 3, v17 :: v_dual_sub_nc_u32 v3, v3, v19
	v_and_b32_e32 v17, 0xffffff00, v17
	s_delay_alu instid0(VALU_DEP_2) | instskip(NEXT) | instid1(VALU_DEP_1)
	v_lshlrev_b32_e32 v3, 3, v3
	v_add3_u32 v16, v17, v3, v16
	s_delay_alu instid0(VALU_DEP_1) | instskip(NEXT) | instid1(VALU_DEP_1)
	v_sub_nc_u32_e32 v9, v9, v16
	v_cmp_lt_i32_e32 vcc_lo, 7, v9
	s_and_b32 exec_lo, exec_lo, vcc_lo
	s_cbranch_execz .LBB4_1149
; %bb.1147:                             ;   in Loop: Header=BB4_1055 Depth=2
	v_add_nc_u32_e32 v16, v16, v18
	s_mov_b32 s20, 0
	s_delay_alu instid0(VALU_DEP_1)
	v_ashrrev_i32_e32 v17, 31, v16
.LBB4_1148:                             ;   Parent Loop BB4_47 Depth=1
                                        ;     Parent Loop BB4_1055 Depth=2
                                        ; =>    This Inner Loop Header: Depth=3
	s_delay_alu instid0(VALU_DEP_1) | instskip(SKIP_3) | instid1(VALU_DEP_3)
	v_add_nc_u64_e32 v[18:19], v[12:13], v[16:17]
	v_sub_nc_u32_e32 v9, v9, v80
	v_add_nc_u64_e32 v[22:23], v[14:15], v[16:17]
	v_add_nc_u64_e32 v[16:17], v[16:17], v[80:81]
	v_cmp_gt_i32_e32 vcc_lo, 8, v9
	flat_load_b64 v[18:19], v[18:19] th:TH_LOAD_NT
	s_or_b32 s20, vcc_lo, s20
	s_wait_loadcnt_dscnt 0x0
	flat_store_b64 v[22:23], v[18:19] th:TH_STORE_NT
	s_wait_xcnt 0x0
	s_and_not1_b32 exec_lo, exec_lo, s20
	s_cbranch_execnz .LBB4_1148
.LBB4_1149:                             ;   in Loop: Header=BB4_1055 Depth=2
	s_or_b32 exec_lo, exec_lo, s13
	v_cmp_lt_i32_e64 s13, 0, v2
	s_and_saveexec_b32 s20, s2
	s_cbranch_execz .LBB4_1126
.LBB4_1150:                             ;   in Loop: Header=BB4_1055 Depth=2
	s_and_saveexec_b32 s41, s3
	s_delay_alu instid0(SALU_CYCLE_1)
	s_xor_b32 s41, exec_lo, s41
	s_cbranch_execz .LBB4_1165
; %bb.1151:                             ;   in Loop: Header=BB4_1055 Depth=2
	s_and_saveexec_b32 s44, s6
	s_cbranch_execz .LBB4_1164
; %bb.1152:                             ;   in Loop: Header=BB4_1055 Depth=2
	s_mov_b32 s72, exec_lo
	s_mov_b32 s45, exec_lo
	v_mbcnt_lo_u32_b32 v2, s72, 0
	global_wb scope:SCOPE_DEV
	s_wait_storecnt 0x0
	s_wait_loadcnt_dscnt 0x0
	global_inv scope:SCOPE_DEV
	v_cmpx_eq_u32_e32 0, v2
	s_cbranch_execz .LBB4_1154
; %bb.1153:                             ;   in Loop: Header=BB4_1055 Depth=2
	s_bcnt1_i32_b32 s72, s72
	s_delay_alu instid0(SALU_CYCLE_1)
	v_mov_b32_e32 v112, s72
	s_wait_loadcnt 0x0
	ds_add_u64 v2, v[112:113]
	s_trap 2
.LBB4_1154:                             ;   in Loop: Header=BB4_1055 Depth=2
	s_or_b32 exec_lo, exec_lo, s45
	s_trap 2
	ds_load_b64 v[2:3], v2
	s_wait_dscnt 0x0
	v_add_nc_u64_e32 v[48:49], v[48:49], v[52:53]
	s_mov_b32 s45, exec_lo
	s_delay_alu instid0(VALU_DEP_1)
	v_cmpx_lt_u64_e64 v[2:3], v[48:49]
	s_cbranch_execz .LBB4_1163
; %bb.1155:                             ;   in Loop: Header=BB4_1055 Depth=2
	s_mov_b32 s72, 0
	s_mov_b32 s75, 0
                                        ; implicit-def: $sgpr73
                                        ; implicit-def: $sgpr74
	s_branch .LBB4_1157
.LBB4_1156:                             ;   in Loop: Header=BB4_1157 Depth=3
	s_or_b32 exec_lo, exec_lo, s77
	s_delay_alu instid0(SALU_CYCLE_1) | instskip(NEXT) | instid1(SALU_CYCLE_1)
	s_and_b32 s76, exec_lo, s78
	s_or_b32 s72, s76, s72
	s_and_not1_b32 s73, s73, exec_lo
	s_and_b32 s76, s74, exec_lo
	s_delay_alu instid0(SALU_CYCLE_1)
	s_or_b32 s73, s73, s76
	s_and_not1_b32 exec_lo, exec_lo, s72
	s_cbranch_execz .LBB4_1161
.LBB4_1157:                             ;   Parent Loop BB4_47 Depth=1
                                        ;     Parent Loop BB4_1055 Depth=2
                                        ; =>    This Inner Loop Header: Depth=3
	s_add_co_i32 s75, s75, 1
	s_delay_alu instid0(SALU_CYCLE_1) | instskip(SKIP_1) | instid1(SALU_CYCLE_1)
	s_cmp_lg_u32 s75, 0x2710
	s_cselect_b32 s76, -1, 0
	s_and_b32 vcc_lo, exec_lo, s76
	s_cbranch_vccz .LBB4_1159
; %bb.1158:                             ;   in Loop: Header=BB4_1157 Depth=3
	s_mov_b32 s78, -1
	s_or_b32 s74, s74, exec_lo
	s_and_saveexec_b32 s77, s76
	s_cbranch_execz .LBB4_1156
	s_branch .LBB4_1160
.LBB4_1159:                             ;   in Loop: Header=BB4_1157 Depth=3
	s_trap 2
	ds_load_b64 v[2:3], v2
	s_and_not1_b32 s76, s76, exec_lo
	s_mov_b32 s75, 0
	s_wait_loadcnt_dscnt 0x0
	flat_load_b32 v2, v[2:3] scope:SCOPE_SYS
	s_wait_loadcnt_dscnt 0x0
	global_inv scope:SCOPE_SYS
	v_cmp_eq_u32_e32 vcc_lo, 0, v2
	s_and_b32 s77, vcc_lo, exec_lo
	s_delay_alu instid0(SALU_CYCLE_1)
	s_or_b32 s76, s76, s77
	s_mov_b32 s78, -1
	s_or_b32 s74, s74, exec_lo
	s_and_saveexec_b32 s77, s76
	s_cbranch_execz .LBB4_1156
.LBB4_1160:                             ;   in Loop: Header=BB4_1157 Depth=3
	s_sleep 1
	s_trap 2
	ds_load_b64 v[2:3], v2
	s_wait_dscnt 0x0
	s_and_not1_b32 s74, s74, exec_lo
	v_cmp_ge_u64_e32 vcc_lo, v[2:3], v[48:49]
	s_or_not1_b32 s78, vcc_lo, exec_lo
	s_branch .LBB4_1156
.LBB4_1161:                             ;   in Loop: Header=BB4_1055 Depth=2
	s_or_b32 exec_lo, exec_lo, s72
	s_and_saveexec_b32 s72, s73
	s_delay_alu instid0(SALU_CYCLE_1)
	s_xor_b32 s72, exec_lo, s72
	s_cbranch_execz .LBB4_1163
; %bb.1162:                             ;   in Loop: Header=BB4_1055 Depth=2
	ds_store_b32 v2, v111
	s_trap 2
.LBB4_1163:                             ;   in Loop: Header=BB4_1055 Depth=2
	s_or_b32 exec_lo, exec_lo, s45
	;;#ASMSTART
	s_wakeup
	;;#ASMEND
.LBB4_1164:                             ;   in Loop: Header=BB4_1055 Depth=2
	s_or_b32 exec_lo, exec_lo, s44
.LBB4_1165:                             ;   in Loop: Header=BB4_1055 Depth=2
	s_and_not1_saveexec_b32 s41, s41
	s_cbranch_execz .LBB4_1167
; %bb.1166:                             ;   in Loop: Header=BB4_1055 Depth=2
	global_wb scope:SCOPE_DEV
	s_wait_storecnt 0x0
	s_wait_loadcnt_dscnt 0x0
	global_inv scope:SCOPE_DEV
	s_barrier_signal -1
	s_barrier_wait -1
.LBB4_1167:                             ;   in Loop: Header=BB4_1055 Depth=2
	s_or_b32 exec_lo, exec_lo, s41
	s_delay_alu instid0(SALU_CYCLE_1) | instskip(SKIP_1) | instid1(SALU_CYCLE_1)
	s_or_b32 exec_lo, exec_lo, s20
	s_and_saveexec_b32 s20, s12
	s_xor_b32 s20, exec_lo, s20
	s_cbranch_execnz .LBB4_1127
.LBB4_1168:                             ;   in Loop: Header=BB4_1055 Depth=2
	s_and_not1_saveexec_b32 s13, s20
	s_cbranch_execz .LBB4_1187
.LBB4_1169:                             ;   in Loop: Header=BB4_1055 Depth=2
	s_and_saveexec_b32 s20, s3
	s_delay_alu instid0(SALU_CYCLE_1)
	s_xor_b32 s20, exec_lo, s20
	s_cbranch_execz .LBB4_1184
; %bb.1170:                             ;   in Loop: Header=BB4_1055 Depth=2
	s_and_saveexec_b32 s41, s6
	s_cbranch_execz .LBB4_1183
; %bb.1171:                             ;   in Loop: Header=BB4_1055 Depth=2
	s_mov_b32 s45, exec_lo
	s_mov_b32 s44, exec_lo
	v_mbcnt_lo_u32_b32 v2, s45, 0
	;;#ASMSTART
	s_waitcnt lgkmcnt(0) vmcnt(0)
	;;#ASMEND
	s_delay_alu instid0(VALU_DEP_1)
	v_cmpx_eq_u32_e32 0, v2
	s_cbranch_execz .LBB4_1173
; %bb.1172:                             ;   in Loop: Header=BB4_1055 Depth=2
	s_bcnt1_i32_b32 s45, s45
	s_delay_alu instid0(SALU_CYCLE_1)
	v_mov_b32_e32 v112, s45
	s_wait_storecnt 0x0
	s_wait_loadcnt_dscnt 0x0
	ds_add_u64 v2, v[112:113]
	s_trap 2
.LBB4_1173:                             ;   in Loop: Header=BB4_1055 Depth=2
	s_or_b32 exec_lo, exec_lo, s44
	s_trap 2
	ds_load_b64 v[2:3], v2
	s_wait_dscnt 0x0
	v_add_nc_u64_e32 v[48:49], v[48:49], v[52:53]
	s_mov_b32 s44, exec_lo
	s_delay_alu instid0(VALU_DEP_1)
	v_cmpx_lt_u64_e64 v[2:3], v[48:49]
	s_cbranch_execz .LBB4_1182
; %bb.1174:                             ;   in Loop: Header=BB4_1055 Depth=2
	s_mov_b32 s45, 0
	s_mov_b32 s74, 0
                                        ; implicit-def: $sgpr72
                                        ; implicit-def: $sgpr73
	s_branch .LBB4_1176
.LBB4_1175:                             ;   in Loop: Header=BB4_1176 Depth=3
	s_or_b32 exec_lo, exec_lo, s76
	s_delay_alu instid0(SALU_CYCLE_1) | instskip(NEXT) | instid1(SALU_CYCLE_1)
	s_and_b32 s75, exec_lo, s77
	s_or_b32 s45, s75, s45
	s_and_not1_b32 s72, s72, exec_lo
	s_and_b32 s75, s73, exec_lo
	s_delay_alu instid0(SALU_CYCLE_1)
	s_or_b32 s72, s72, s75
	s_and_not1_b32 exec_lo, exec_lo, s45
	s_cbranch_execz .LBB4_1180
.LBB4_1176:                             ;   Parent Loop BB4_47 Depth=1
                                        ;     Parent Loop BB4_1055 Depth=2
                                        ; =>    This Inner Loop Header: Depth=3
	s_add_co_i32 s74, s74, 1
	s_delay_alu instid0(SALU_CYCLE_1) | instskip(SKIP_1) | instid1(SALU_CYCLE_1)
	s_cmp_lg_u32 s74, 0x2710
	s_cselect_b32 s75, -1, 0
	s_and_b32 vcc_lo, exec_lo, s75
	s_cbranch_vccz .LBB4_1178
; %bb.1177:                             ;   in Loop: Header=BB4_1176 Depth=3
	s_mov_b32 s77, -1
	s_or_b32 s73, s73, exec_lo
	s_and_saveexec_b32 s76, s75
	s_cbranch_execz .LBB4_1175
	s_branch .LBB4_1179
.LBB4_1178:                             ;   in Loop: Header=BB4_1176 Depth=3
	s_trap 2
	ds_load_b64 v[2:3], v2
	s_and_not1_b32 s75, s75, exec_lo
	s_mov_b32 s74, 0
	s_wait_storecnt 0x0
	s_wait_loadcnt_dscnt 0x0
	flat_load_b32 v2, v[2:3] scope:SCOPE_SYS
	s_wait_loadcnt_dscnt 0x0
	global_inv scope:SCOPE_SYS
	v_cmp_eq_u32_e32 vcc_lo, 0, v2
	s_and_b32 s76, vcc_lo, exec_lo
	s_delay_alu instid0(SALU_CYCLE_1)
	s_or_b32 s75, s75, s76
	s_mov_b32 s77, -1
	s_or_b32 s73, s73, exec_lo
	s_and_saveexec_b32 s76, s75
	s_cbranch_execz .LBB4_1175
.LBB4_1179:                             ;   in Loop: Header=BB4_1176 Depth=3
	s_sleep 1
	s_trap 2
	ds_load_b64 v[2:3], v2
	s_wait_dscnt 0x0
	s_and_not1_b32 s73, s73, exec_lo
	v_cmp_ge_u64_e32 vcc_lo, v[2:3], v[48:49]
	s_or_not1_b32 s77, vcc_lo, exec_lo
	s_branch .LBB4_1175
.LBB4_1180:                             ;   in Loop: Header=BB4_1055 Depth=2
	s_or_b32 exec_lo, exec_lo, s45
	s_and_saveexec_b32 s45, s72
	s_delay_alu instid0(SALU_CYCLE_1)
	s_xor_b32 s45, exec_lo, s45
	s_cbranch_execz .LBB4_1182
; %bb.1181:                             ;   in Loop: Header=BB4_1055 Depth=2
	ds_store_b32 v2, v111
	s_trap 2
.LBB4_1182:                             ;   in Loop: Header=BB4_1055 Depth=2
	s_or_b32 exec_lo, exec_lo, s44
	;;#ASMSTART
	s_wakeup
	;;#ASMEND
.LBB4_1183:                             ;   in Loop: Header=BB4_1055 Depth=2
	s_or_b32 exec_lo, exec_lo, s41
.LBB4_1184:                             ;   in Loop: Header=BB4_1055 Depth=2
	s_and_not1_saveexec_b32 s20, s20
	s_cbranch_execz .LBB4_1186
; %bb.1185:                             ;   in Loop: Header=BB4_1055 Depth=2
	;;#ASMSTART
	s_waitcnt lgkmcnt(0) vmcnt(0)
	;;#ASMEND
	s_barrier_signal -1
	s_barrier_wait -1
.LBB4_1186:                             ;   in Loop: Header=BB4_1055 Depth=2
	s_or_b32 exec_lo, exec_lo, s20
.LBB4_1187:                             ;   in Loop: Header=BB4_1055 Depth=2
	s_delay_alu instid0(SALU_CYCLE_1) | instskip(SKIP_2) | instid1(VALU_DEP_1)
	s_or_b32 exec_lo, exec_lo, s13
	v_and_b32_e32 v2, 32, v30
	s_mov_b32 s13, exec_lo
	v_cmpx_ne_u32_e32 0, v2
	s_cbranch_execz .LBB4_1054
; %bb.1188:                             ;   in Loop: Header=BB4_1055 Depth=2
	v_add_nc_u64_e32 v[114:115], 2, v[114:115]
	global_wb scope:SCOPE_SYS
	s_wait_storecnt 0x0
	s_wait_loadcnt_dscnt 0x0
	flat_store_b64 v[32:33], v[114:115] scope:SCOPE_SYS
	s_branch .LBB4_1054
.LBB4_1189:                             ;   in Loop: Header=BB4_47 Depth=1
	s_or_b32 exec_lo, exec_lo, s15
.LBB4_1190:                             ;   in Loop: Header=BB4_47 Depth=1
	s_delay_alu instid0(SALU_CYCLE_1) | instskip(NEXT) | instid1(SALU_CYCLE_1)
	s_or_b32 exec_lo, exec_lo, s14
	s_mov_b32 s14, exec_lo
	v_cmpx_gt_i32_e32 2, v2
	s_cbranch_execz .LBB4_46
; %bb.1191:                             ;   in Loop: Header=BB4_47 Depth=1
	v_cmp_eq_u32_e64 s16, 0, v2
	s_mov_b32 s15, 0
	s_branch .LBB4_1193
.LBB4_1192:                             ;   in Loop: Header=BB4_1193 Depth=2
	s_wait_xcnt 0x0
	s_or_b32 exec_lo, exec_lo, s13
	v_add_nc_u32_e32 v8, v21, v8
	s_mov_b32 s16, 0
	s_and_not1_b32 exec_lo, exec_lo, s15
	s_cbranch_execz .LBB4_45
.LBB4_1193:                             ;   Parent Loop BB4_47 Depth=1
                                        ; =>  This Loop Header: Depth=2
                                        ;       Child Loop BB4_1199 Depth 3
                                        ;       Child Loop BB4_1223 Depth 3
	;; [unrolled: 1-line block ×3, first 2 shown]
	v_and_b32_e32 v2, 4, v30
	s_mov_b32 s17, exec_lo
	s_delay_alu instid0(VALU_DEP_1)
	v_cmpx_ne_u32_e32 0, v2
	s_cbranch_execz .LBB4_1215
; %bb.1194:                             ;   in Loop: Header=BB4_1193 Depth=2
	v_add_nc_u64_e32 v[10:11], 2, v[114:115]
	s_mov_b32 s20, exec_lo
	s_wait_loadcnt_dscnt 0x1
	s_delay_alu instid0(VALU_DEP_1)
	v_cmpx_lt_u64_e64 v[50:51], v[10:11]
	s_cbranch_execz .LBB4_1206
; %bb.1195:                             ;   in Loop: Header=BB4_1193 Depth=2
	v_and_b32_e32 v2, 64, v30
	s_mov_b32 s41, 0
	s_mov_b32 s73, 0
                                        ; implicit-def: $sgpr44
                                        ; implicit-def: $sgpr45
                                        ; implicit-def: $sgpr72
	s_delay_alu instid0(VALU_DEP_1)
	v_cmp_eq_u32_e32 vcc_lo, 0, v2
	s_branch .LBB4_1199
.LBB4_1196:                             ;   in Loop: Header=BB4_1199 Depth=3
	s_wait_loadcnt_dscnt 0x0
	v_cmp_ge_u64_e64 s13, v[50:51], v[10:11]
	s_or_b32 s76, s76, exec_lo
	s_or_not1_b32 s75, s13, exec_lo
.LBB4_1197:                             ;   in Loop: Header=BB4_1199 Depth=3
	s_or_b32 exec_lo, exec_lo, s78
	s_delay_alu instid0(SALU_CYCLE_1)
	s_and_not1_b32 s13, s72, exec_lo
	s_and_b32 s72, s76, exec_lo
	s_and_not1_b32 s45, s45, exec_lo
	s_and_b32 s75, s75, exec_lo
	s_or_b32 s72, s13, s72
	s_or_b32 s45, s45, s75
.LBB4_1198:                             ;   in Loop: Header=BB4_1199 Depth=3
	s_or_b32 exec_lo, exec_lo, s74
	s_delay_alu instid0(SALU_CYCLE_1) | instskip(NEXT) | instid1(SALU_CYCLE_1)
	s_and_b32 s13, exec_lo, s45
	s_or_b32 s41, s13, s41
	s_and_not1_b32 s13, s44, exec_lo
	s_and_b32 s44, s72, exec_lo
	s_delay_alu instid0(SALU_CYCLE_1)
	s_or_b32 s44, s13, s44
	s_and_not1_b32 exec_lo, exec_lo, s41
	s_cbranch_execz .LBB4_1203
.LBB4_1199:                             ;   Parent Loop BB4_47 Depth=1
                                        ;     Parent Loop BB4_1193 Depth=2
                                        ; =>    This Inner Loop Header: Depth=3
	s_sleep 1
	s_wait_loadcnt_dscnt 0x0
	flat_load_b64 v[50:51], v[32:33] scope:SCOPE_SYS
	s_or_b32 s72, s72, exec_lo
	s_or_b32 s45, s45, exec_lo
                                        ; implicit-def: $vgpr2
	s_wait_xcnt 0x0
	s_and_saveexec_b32 s74, vcc_lo
	s_cbranch_execz .LBB4_1198
; %bb.1200:                             ;   in Loop: Header=BB4_1199 Depth=3
	s_cmp_lt_i32 s73, 0x270f
	s_mov_b32 s75, -1
	s_cselect_b32 s77, -1, 0
	s_cmp_gt_i32 s73, 0x270e
	s_cbranch_scc0 .LBB4_1202
; %bb.1201:                             ;   in Loop: Header=BB4_1199 Depth=3
	s_trap 2
	ds_load_b64 v[2:3], v3
	s_and_not1_b32 s73, s77, exec_lo
	s_mov_b32 s76, 0
	s_wait_storecnt 0x0
	s_wait_loadcnt_dscnt 0x0
	flat_load_b32 v2, v[2:3] scope:SCOPE_SYS
	s_wait_loadcnt_dscnt 0x0
	global_inv scope:SCOPE_SYS
	v_cmp_eq_u32_e64 s13, 0, v2
	s_and_b32 s13, s13, exec_lo
	s_delay_alu instid0(SALU_CYCLE_1)
	s_or_b32 s77, s73, s13
	s_mov_b32 s73, 0
	s_and_saveexec_b32 s78, s77
	s_cbranch_execz .LBB4_1197
	s_branch .LBB4_1196
.LBB4_1202:                             ;   in Loop: Header=BB4_1199 Depth=3
	s_add_co_i32 s73, s73, 1
	s_mov_b32 s76, -1
                                        ; implicit-def: $vgpr2
	s_and_saveexec_b32 s78, s77
	s_cbranch_execz .LBB4_1197
	s_branch .LBB4_1196
.LBB4_1203:                             ;   in Loop: Header=BB4_1193 Depth=2
	s_or_b32 exec_lo, exec_lo, s41
	s_xor_b32 s13, s44, -1
	s_delay_alu instid0(SALU_CYCLE_1) | instskip(NEXT) | instid1(SALU_CYCLE_1)
	s_and_saveexec_b32 s41, s13
	s_xor_b32 s13, exec_lo, s41
	s_cbranch_execz .LBB4_1205
; %bb.1204:                             ;   in Loop: Header=BB4_1193 Depth=2
	v_or_b32_e32 v30, 64, v30
	s_wait_storecnt 0x0
	s_wait_loadcnt_dscnt 0x0
	ds_store_b32 v3, v2
	s_trap 2
.LBB4_1205:                             ;   in Loop: Header=BB4_1193 Depth=2
	s_or_b32 exec_lo, exec_lo, s13
.LBB4_1206:                             ;   in Loop: Header=BB4_1193 Depth=2
	s_delay_alu instid0(SALU_CYCLE_1)
	s_or_b32 exec_lo, exec_lo, s20
	v_and_b32_e32 v2, 0x100, v30
	v_and_b32_e32 v112, 7, v114
	s_mov_b32 s13, -1
	s_mov_b32 s20, exec_lo
	;;#ASMSTART
	s_wakeup
	;;#ASMEND
                                        ; implicit-def: $vgpr12_vgpr13
	v_cmpx_ne_u32_e32 0, v2
	s_cbranch_execz .LBB4_1210
; %bb.1207:                             ;   in Loop: Header=BB4_1193 Depth=2
	v_mad_nc_u64_u32 v[14:15], v112, 24, v[6:7]
	s_mov_b32 s41, exec_lo
                                        ; implicit-def: $vgpr12_vgpr13
	flat_load_b32 v2, v[14:15]
	s_wait_loadcnt_dscnt 0x0
	v_cmp_ne_u32_e32 vcc_lo, 1, v2
	s_wait_xcnt 0x0
	v_cmpx_eq_u32_e32 1, v2
	s_cbranch_execz .LBB4_1209
; %bb.1208:                             ;   in Loop: Header=BB4_1193 Depth=2
	flat_load_b32 v2, v[14:15] offset:4 scope:SCOPE_SYS
	s_wait_loadcnt_dscnt 0x0
	v_ashrrev_i32_e32 v3, 31, v2
	s_delay_alu instid0(VALU_DEP_1)
	v_lshrrev_b64 v[12:13], 3, v[2:3]
.LBB4_1209:                             ;   in Loop: Header=BB4_1193 Depth=2
	s_wait_xcnt 0x0
	s_or_b32 exec_lo, exec_lo, s41
	s_delay_alu instid0(SALU_CYCLE_1)
	s_or_not1_b32 s13, vcc_lo, exec_lo
.LBB4_1210:                             ;   in Loop: Header=BB4_1193 Depth=2
	s_or_b32 exec_lo, exec_lo, s20
	s_and_saveexec_b32 s20, s13
; %bb.1211:                             ;   in Loop: Header=BB4_1193 Depth=2
	v_mul_u64_e32 v[12:13], v[112:113], v[34:35]
; %bb.1212:                             ;   in Loop: Header=BB4_1193 Depth=2
	s_or_b32 exec_lo, exec_lo, s20
	v_and_b32_e32 v9, 0x2000, v30
	s_delay_alu instid0(VALU_DEP_2)
	v_lshl_add_u64 v[2:3], v[12:13], 3, v[36:37]
	s_mov_b32 s13, exec_lo
	ds_store_b64 v0, v[2:3] offset:720
	v_cmpx_ne_u32_e32 0, v9
	s_cbranch_execz .LBB4_1214
; %bb.1213:                             ;   in Loop: Header=BB4_1193 Depth=2
	ds_load_b64 v[2:3], v0 offset:872
	s_wait_dscnt 0x0
	v_add_nc_u64_e32 v[2:3], 1, v[2:3]
	ds_store_b64 v0, v[2:3] offset:872
.LBB4_1214:                             ;   in Loop: Header=BB4_1193 Depth=2
	s_or_b32 exec_lo, exec_lo, s13
	v_mov_b64_e32 v[114:115], v[10:11]
.LBB4_1215:                             ;   in Loop: Header=BB4_1193 Depth=2
	s_or_b32 exec_lo, exec_lo, s17
	s_xor_b32 s13, s16, -1
	s_delay_alu instid0(SALU_CYCLE_1) | instskip(NEXT) | instid1(SALU_CYCLE_1)
	s_and_b32 s13, exec_lo, s13
	s_or_b32 s15, s13, s15
	s_and_saveexec_b32 s13, s2
	s_cbranch_execz .LBB4_1234
; %bb.1216:                             ;   in Loop: Header=BB4_1193 Depth=2
	s_and_saveexec_b32 s16, s3
	s_delay_alu instid0(SALU_CYCLE_1)
	s_xor_b32 s16, exec_lo, s16
	s_cbranch_execz .LBB4_1231
; %bb.1217:                             ;   in Loop: Header=BB4_1193 Depth=2
	s_and_saveexec_b32 s17, s6
	s_cbranch_execz .LBB4_1230
; %bb.1218:                             ;   in Loop: Header=BB4_1193 Depth=2
	s_mov_b32 s41, exec_lo
	s_mov_b32 s20, exec_lo
	v_mbcnt_lo_u32_b32 v2, s41, 0
	global_wb scope:SCOPE_DEV
	s_wait_storecnt 0x0
	s_wait_loadcnt_dscnt 0x0
	global_inv scope:SCOPE_DEV
	v_cmpx_eq_u32_e32 0, v2
	s_cbranch_execz .LBB4_1220
; %bb.1219:                             ;   in Loop: Header=BB4_1193 Depth=2
	s_bcnt1_i32_b32 s41, s41
	s_delay_alu instid0(SALU_CYCLE_1)
	v_mov_b32_e32 v112, s41
	s_wait_loadcnt 0x0
	ds_add_u64 v2, v[112:113]
	s_trap 2
.LBB4_1220:                             ;   in Loop: Header=BB4_1193 Depth=2
	s_or_b32 exec_lo, exec_lo, s20
	s_trap 2
	ds_load_b64 v[2:3], v2
	s_wait_dscnt 0x0
	v_add_nc_u64_e32 v[48:49], v[48:49], v[52:53]
	s_mov_b32 s20, exec_lo
	s_delay_alu instid0(VALU_DEP_1)
	v_cmpx_lt_u64_e64 v[2:3], v[48:49]
	s_cbranch_execz .LBB4_1229
; %bb.1221:                             ;   in Loop: Header=BB4_1193 Depth=2
	s_mov_b32 s41, 0
	s_mov_b32 s72, 0
                                        ; implicit-def: $sgpr44
                                        ; implicit-def: $sgpr45
	s_branch .LBB4_1223
.LBB4_1222:                             ;   in Loop: Header=BB4_1223 Depth=3
	s_or_b32 exec_lo, exec_lo, s74
	s_delay_alu instid0(SALU_CYCLE_1) | instskip(NEXT) | instid1(SALU_CYCLE_1)
	s_and_b32 s73, exec_lo, s75
	s_or_b32 s41, s73, s41
	s_and_not1_b32 s44, s44, exec_lo
	s_and_b32 s73, s45, exec_lo
	s_delay_alu instid0(SALU_CYCLE_1)
	s_or_b32 s44, s44, s73
	s_and_not1_b32 exec_lo, exec_lo, s41
	s_cbranch_execz .LBB4_1227
.LBB4_1223:                             ;   Parent Loop BB4_47 Depth=1
                                        ;     Parent Loop BB4_1193 Depth=2
                                        ; =>    This Inner Loop Header: Depth=3
	s_add_co_i32 s72, s72, 1
	s_delay_alu instid0(SALU_CYCLE_1) | instskip(SKIP_1) | instid1(SALU_CYCLE_1)
	s_cmp_lg_u32 s72, 0x2710
	s_cselect_b32 s73, -1, 0
	s_and_b32 vcc_lo, exec_lo, s73
	s_cbranch_vccz .LBB4_1225
; %bb.1224:                             ;   in Loop: Header=BB4_1223 Depth=3
	s_mov_b32 s75, -1
	s_or_b32 s45, s45, exec_lo
	s_and_saveexec_b32 s74, s73
	s_cbranch_execz .LBB4_1222
	s_branch .LBB4_1226
.LBB4_1225:                             ;   in Loop: Header=BB4_1223 Depth=3
	s_trap 2
	ds_load_b64 v[2:3], v2
	s_and_not1_b32 s73, s73, exec_lo
	s_mov_b32 s72, 0
	s_wait_loadcnt_dscnt 0x0
	flat_load_b32 v2, v[2:3] scope:SCOPE_SYS
	s_wait_loadcnt_dscnt 0x0
	global_inv scope:SCOPE_SYS
	v_cmp_eq_u32_e32 vcc_lo, 0, v2
	s_and_b32 s74, vcc_lo, exec_lo
	s_delay_alu instid0(SALU_CYCLE_1)
	s_or_b32 s73, s73, s74
	s_mov_b32 s75, -1
	s_or_b32 s45, s45, exec_lo
	s_and_saveexec_b32 s74, s73
	s_cbranch_execz .LBB4_1222
.LBB4_1226:                             ;   in Loop: Header=BB4_1223 Depth=3
	s_sleep 1
	s_trap 2
	ds_load_b64 v[2:3], v2
	s_wait_dscnt 0x0
	s_and_not1_b32 s45, s45, exec_lo
	v_cmp_ge_u64_e32 vcc_lo, v[2:3], v[48:49]
	s_or_not1_b32 s75, vcc_lo, exec_lo
	s_branch .LBB4_1222
.LBB4_1227:                             ;   in Loop: Header=BB4_1193 Depth=2
	s_or_b32 exec_lo, exec_lo, s41
	s_and_saveexec_b32 s41, s44
	s_delay_alu instid0(SALU_CYCLE_1)
	s_xor_b32 s41, exec_lo, s41
	s_cbranch_execz .LBB4_1229
; %bb.1228:                             ;   in Loop: Header=BB4_1193 Depth=2
	ds_store_b32 v2, v111
	s_trap 2
.LBB4_1229:                             ;   in Loop: Header=BB4_1193 Depth=2
	s_or_b32 exec_lo, exec_lo, s20
	;;#ASMSTART
	s_wakeup
	;;#ASMEND
.LBB4_1230:                             ;   in Loop: Header=BB4_1193 Depth=2
	s_or_b32 exec_lo, exec_lo, s17
.LBB4_1231:                             ;   in Loop: Header=BB4_1193 Depth=2
	s_and_not1_saveexec_b32 s16, s16
	s_cbranch_execz .LBB4_1233
; %bb.1232:                             ;   in Loop: Header=BB4_1193 Depth=2
	global_wb scope:SCOPE_DEV
	s_wait_storecnt 0x0
	s_wait_loadcnt_dscnt 0x0
	global_inv scope:SCOPE_DEV
	s_barrier_signal -1
	s_barrier_wait -1
.LBB4_1233:                             ;   in Loop: Header=BB4_1193 Depth=2
	s_or_b32 exec_lo, exec_lo, s16
.LBB4_1234:                             ;   in Loop: Header=BB4_1193 Depth=2
	s_delay_alu instid0(SALU_CYCLE_1) | instskip(SKIP_1) | instid1(VALU_DEP_1)
	s_or_b32 exec_lo, exec_lo, s13
	v_sub_nc_u32_e32 v2, v20, v8
	v_min_i32_e32 v21, v21, v2
	s_and_saveexec_b32 s13, s12
	s_delay_alu instid0(SALU_CYCLE_1)
	s_xor_b32 s16, exec_lo, s13
	s_cbranch_execz .LBB4_1238
; %bb.1235:                             ;   in Loop: Header=BB4_1193 Depth=2
	s_trap 2
	ds_load_b32 v2, v2
	v_cmp_lt_i32_e32 vcc_lo, 0, v21
	s_wait_dscnt 0x0
	v_readfirstlane_b32 s13, v2
	v_and_b32_e32 v2, 16, v30
	s_cmp_eq_u32 s13, 0
	s_delay_alu instid0(VALU_DEP_1) | instskip(SKIP_1) | instid1(SALU_CYCLE_1)
	v_cmp_ne_u32_e64 s13, 0, v2
	s_cselect_b32 s17, -1, 0
	s_and_b32 s17, vcc_lo, s17
	s_delay_alu instid0(SALU_CYCLE_1) | instskip(NEXT) | instid1(SALU_CYCLE_1)
	s_and_b32 s17, s13, s17
	s_and_saveexec_b32 s13, s17
	s_cbranch_execz .LBB4_1237
; %bb.1236:                             ;   in Loop: Header=BB4_1193 Depth=2
	global_wb scope:SCOPE_SYS
	s_wait_loadcnt 0x0
	s_wait_storecnt 0x0
	global_inv scope:SCOPE_SYS
.LBB4_1237:                             ;   in Loop: Header=BB4_1193 Depth=2
	s_or_b32 exec_lo, exec_lo, s13
.LBB4_1238:                             ;   in Loop: Header=BB4_1193 Depth=2
	s_and_not1_saveexec_b32 s13, s16
	s_cbranch_execz .LBB4_1257
; %bb.1239:                             ;   in Loop: Header=BB4_1193 Depth=2
	s_and_saveexec_b32 s16, s3
	s_delay_alu instid0(SALU_CYCLE_1)
	s_xor_b32 s16, exec_lo, s16
	s_cbranch_execz .LBB4_1254
; %bb.1240:                             ;   in Loop: Header=BB4_1193 Depth=2
	s_and_saveexec_b32 s17, s6
	s_cbranch_execz .LBB4_1253
; %bb.1241:                             ;   in Loop: Header=BB4_1193 Depth=2
	s_mov_b32 s41, exec_lo
	s_mov_b32 s20, exec_lo
	v_mbcnt_lo_u32_b32 v2, s41, 0
	;;#ASMSTART
	s_waitcnt lgkmcnt(0) vmcnt(0)
	;;#ASMEND
	s_delay_alu instid0(VALU_DEP_1)
	v_cmpx_eq_u32_e32 0, v2
	s_cbranch_execz .LBB4_1243
; %bb.1242:                             ;   in Loop: Header=BB4_1193 Depth=2
	s_bcnt1_i32_b32 s41, s41
	s_delay_alu instid0(SALU_CYCLE_1)
	v_mov_b32_e32 v112, s41
	s_wait_storecnt 0x0
	s_wait_loadcnt_dscnt 0x0
	ds_add_u64 v2, v[112:113]
	s_trap 2
.LBB4_1243:                             ;   in Loop: Header=BB4_1193 Depth=2
	s_or_b32 exec_lo, exec_lo, s20
	s_trap 2
	ds_load_b64 v[2:3], v2
	s_wait_dscnt 0x0
	v_add_nc_u64_e32 v[48:49], v[48:49], v[52:53]
	s_mov_b32 s20, exec_lo
	s_delay_alu instid0(VALU_DEP_1)
	v_cmpx_lt_u64_e64 v[2:3], v[48:49]
	s_cbranch_execz .LBB4_1252
; %bb.1244:                             ;   in Loop: Header=BB4_1193 Depth=2
	s_mov_b32 s41, 0
	s_mov_b32 s72, 0
                                        ; implicit-def: $sgpr44
                                        ; implicit-def: $sgpr45
	s_branch .LBB4_1246
.LBB4_1245:                             ;   in Loop: Header=BB4_1246 Depth=3
	s_or_b32 exec_lo, exec_lo, s74
	s_delay_alu instid0(SALU_CYCLE_1) | instskip(NEXT) | instid1(SALU_CYCLE_1)
	s_and_b32 s73, exec_lo, s75
	s_or_b32 s41, s73, s41
	s_and_not1_b32 s44, s44, exec_lo
	s_and_b32 s73, s45, exec_lo
	s_delay_alu instid0(SALU_CYCLE_1)
	s_or_b32 s44, s44, s73
	s_and_not1_b32 exec_lo, exec_lo, s41
	s_cbranch_execz .LBB4_1250
.LBB4_1246:                             ;   Parent Loop BB4_47 Depth=1
                                        ;     Parent Loop BB4_1193 Depth=2
                                        ; =>    This Inner Loop Header: Depth=3
	s_add_co_i32 s72, s72, 1
	s_delay_alu instid0(SALU_CYCLE_1) | instskip(SKIP_1) | instid1(SALU_CYCLE_1)
	s_cmp_lg_u32 s72, 0x2710
	s_cselect_b32 s73, -1, 0
	s_and_b32 vcc_lo, exec_lo, s73
	s_cbranch_vccz .LBB4_1248
; %bb.1247:                             ;   in Loop: Header=BB4_1246 Depth=3
	s_mov_b32 s75, -1
	s_or_b32 s45, s45, exec_lo
	s_and_saveexec_b32 s74, s73
	s_cbranch_execz .LBB4_1245
	s_branch .LBB4_1249
.LBB4_1248:                             ;   in Loop: Header=BB4_1246 Depth=3
	s_trap 2
	ds_load_b64 v[2:3], v2
	s_and_not1_b32 s73, s73, exec_lo
	s_mov_b32 s72, 0
	s_wait_storecnt 0x0
	s_wait_loadcnt_dscnt 0x0
	flat_load_b32 v2, v[2:3] scope:SCOPE_SYS
	s_wait_loadcnt_dscnt 0x0
	global_inv scope:SCOPE_SYS
	v_cmp_eq_u32_e32 vcc_lo, 0, v2
	s_and_b32 s74, vcc_lo, exec_lo
	s_delay_alu instid0(SALU_CYCLE_1)
	s_or_b32 s73, s73, s74
	s_mov_b32 s75, -1
	s_or_b32 s45, s45, exec_lo
	s_and_saveexec_b32 s74, s73
	s_cbranch_execz .LBB4_1245
.LBB4_1249:                             ;   in Loop: Header=BB4_1246 Depth=3
	s_sleep 1
	s_trap 2
	ds_load_b64 v[2:3], v2
	s_wait_dscnt 0x0
	s_and_not1_b32 s45, s45, exec_lo
	v_cmp_ge_u64_e32 vcc_lo, v[2:3], v[48:49]
	s_or_not1_b32 s75, vcc_lo, exec_lo
	s_branch .LBB4_1245
.LBB4_1250:                             ;   in Loop: Header=BB4_1193 Depth=2
	s_or_b32 exec_lo, exec_lo, s41
	s_and_saveexec_b32 s41, s44
	s_delay_alu instid0(SALU_CYCLE_1)
	s_xor_b32 s41, exec_lo, s41
	s_cbranch_execz .LBB4_1252
; %bb.1251:                             ;   in Loop: Header=BB4_1193 Depth=2
	ds_store_b32 v2, v111
	s_trap 2
.LBB4_1252:                             ;   in Loop: Header=BB4_1193 Depth=2
	s_or_b32 exec_lo, exec_lo, s20
	;;#ASMSTART
	s_wakeup
	;;#ASMEND
.LBB4_1253:                             ;   in Loop: Header=BB4_1193 Depth=2
	s_or_b32 exec_lo, exec_lo, s17
.LBB4_1254:                             ;   in Loop: Header=BB4_1193 Depth=2
	s_and_not1_saveexec_b32 s16, s16
	s_cbranch_execz .LBB4_1256
; %bb.1255:                             ;   in Loop: Header=BB4_1193 Depth=2
	;;#ASMSTART
	s_waitcnt lgkmcnt(0) vmcnt(0)
	;;#ASMEND
	s_barrier_signal -1
	s_barrier_wait -1
.LBB4_1256:                             ;   in Loop: Header=BB4_1193 Depth=2
	s_or_b32 exec_lo, exec_lo, s16
.LBB4_1257:                             ;   in Loop: Header=BB4_1193 Depth=2
	s_delay_alu instid0(SALU_CYCLE_1) | instskip(SKIP_2) | instid1(VALU_DEP_1)
	s_or_b32 exec_lo, exec_lo, s13
	v_and_b32_e32 v2, 32, v30
	s_mov_b32 s13, exec_lo
	v_cmpx_ne_u32_e32 0, v2
	s_cbranch_execz .LBB4_1192
; %bb.1258:                             ;   in Loop: Header=BB4_1193 Depth=2
	v_add_nc_u64_e32 v[114:115], 2, v[114:115]
	global_wb scope:SCOPE_SYS
	s_wait_storecnt 0x0
	s_wait_loadcnt_dscnt 0x0
	flat_store_b64 v[32:33], v[114:115] scope:SCOPE_SYS
	s_branch .LBB4_1192
.LBB4_1259:
	s_or_b32 exec_lo, exec_lo, s63
	scratch_load_b64 v[22:23], off, s33 offset:180 ; 8-byte Folded Reload
.LBB4_1260:
	s_wait_xcnt 0x0
	s_or_b32 exec_lo, exec_lo, s47
	v_and_b32_e32 v0, 0x800, v30
	s_mov_b32 s1, exec_lo
	s_delay_alu instid0(VALU_DEP_1)
	v_cmpx_eq_u32_e32 0, v0
	s_cbranch_execz .LBB4_1293
; %bb.1261:
	v_and_b32_e32 v0, 48, v30
	s_mov_b32 s0, exec_lo
	s_delay_alu instid0(VALU_DEP_1)
	v_cmpx_ne_u32_e32 0, v0
	s_cbranch_execz .LBB4_1263
; %bb.1262:
	s_wait_loadcnt 0x0
	flat_store_b64 v[22:23], v[114:115] offset:104
.LBB4_1263:
	s_wait_xcnt 0x0
	s_or_b32 exec_lo, exec_lo, s0
	v_and_b32_e32 v0, 0x88, v30
	s_mov_b32 s2, exec_lo
	s_delay_alu instid0(VALU_DEP_1)
	v_cmpx_eq_u32_e32 0x88, v0
	s_cbranch_execz .LBB4_1273
; %bb.1264:
	v_add_nc_u32_e32 v0, 6, v114
	s_mov_b32 s3, 0
	s_delay_alu instid0(VALU_DEP_1) | instskip(NEXT) | instid1(VALU_DEP_1)
	v_and_b32_e32 v0, 7, v0
	v_mad_nc_u64_u32 v[2:3], v0, 24, v[6:7]
	v_and_b32_e32 v0, 64, v30
	s_delay_alu instid0(VALU_DEP_1)
	v_cmp_eq_u32_e64 s0, 0, v0
	flat_load_b64 v[4:5], v[2:3] offset:8 scope:SCOPE_SYS
	s_wait_loadcnt_dscnt 0x0
	v_cmp_ne_u64_e32 vcc_lo, -1, v[4:5]
	s_and_b32 s0, vcc_lo, s0
	s_wait_xcnt 0x0
	s_and_b32 exec_lo, exec_lo, s0
	s_cbranch_execz .LBB4_1273
; %bb.1265:
	s_mov_b32 s5, 0
                                        ; implicit-def: $sgpr0
                                        ; implicit-def: $sgpr4
	s_branch .LBB4_1268
.LBB4_1266:                             ;   in Loop: Header=BB4_1268 Depth=1
	flat_load_b64 v[4:5], v[2:3] offset:8 scope:SCOPE_SYS
	s_wait_loadcnt 0x0
	s_and_not1_b32 s4, s4, exec_lo
	s_wait_dscnt 0x0
	v_cmp_eq_u64_e32 vcc_lo, -1, v[4:5]
	s_or_not1_b32 s7, vcc_lo, exec_lo
.LBB4_1267:                             ;   in Loop: Header=BB4_1268 Depth=1
	s_wait_xcnt 0x0
	s_or_b32 exec_lo, exec_lo, s10
	s_delay_alu instid0(SALU_CYCLE_1) | instskip(NEXT) | instid1(SALU_CYCLE_1)
	s_and_b32 s6, exec_lo, s7
	s_or_b32 s3, s6, s3
	s_and_not1_b32 s0, s0, exec_lo
	s_and_b32 s6, s4, exec_lo
	s_delay_alu instid0(SALU_CYCLE_1)
	s_or_b32 s0, s0, s6
	s_and_not1_b32 exec_lo, exec_lo, s3
	s_cbranch_execz .LBB4_1271
.LBB4_1268:                             ; =>This Inner Loop Header: Depth=1
	s_cmp_lt_i32 s5, 0x270f
	s_cselect_b32 s6, -1, 0
	s_delay_alu instid0(SALU_CYCLE_1)
	s_and_b32 vcc_lo, exec_lo, s6
	s_cbranch_vccnz .LBB4_1270
; %bb.1269:                             ;   in Loop: Header=BB4_1268 Depth=1
	s_trap 2
	ds_load_b64 v[4:5], v4
	s_and_not1_b32 s6, s6, exec_lo
	s_mov_b32 s5, 0
	s_wait_storecnt_dscnt 0x0
	flat_load_b32 v0, v[4:5] scope:SCOPE_SYS
	s_wait_loadcnt_dscnt 0x0
	global_inv scope:SCOPE_SYS
	v_cmp_eq_u32_e32 vcc_lo, 0, v0
	s_and_b32 s7, vcc_lo, exec_lo
	s_delay_alu instid0(SALU_CYCLE_1)
	s_or_b32 s6, s6, s7
	s_mov_b32 s7, -1
	s_or_b32 s4, s4, exec_lo
	s_wait_xcnt 0x0
	s_and_saveexec_b32 s10, s6
	s_cbranch_execz .LBB4_1267
	s_branch .LBB4_1266
.LBB4_1270:                             ;   in Loop: Header=BB4_1268 Depth=1
	s_add_co_i32 s5, s5, 1
                                        ; implicit-def: $vgpr0
	s_mov_b32 s7, -1
	s_or_b32 s4, s4, exec_lo
	s_and_saveexec_b32 s10, s6
	s_cbranch_execz .LBB4_1267
	s_branch .LBB4_1266
.LBB4_1271:
	s_or_b32 exec_lo, exec_lo, s3
	s_and_saveexec_b32 s3, s0
	s_delay_alu instid0(SALU_CYCLE_1)
	s_xor_b32 s3, exec_lo, s3
	s_cbranch_execz .LBB4_1273
; %bb.1272:
	s_wait_loadcnt 0x0
	s_wait_storecnt 0x0
	ds_store_b32 v2, v0
	s_trap 2
.LBB4_1273:
	s_or_b32 exec_lo, exec_lo, s2
	v_and_b32_e32 v0, 0x2000, v30
	s_mov_b32 s0, exec_lo
	s_delay_alu instid0(VALU_DEP_1)
	v_cmpx_ne_u32_e32 0, v0
	s_cbranch_execz .LBB4_1275
; %bb.1274:
	s_trap 2
	scratch_load_b64 v[4:5], off, s33 offset:188 th:TH_LOAD_LU ; 8-byte Folded Reload
	ds_load_b64 v[2:3], v0
	s_wait_loadcnt_dscnt 0x0
	flat_store_b64 v[4:5], v[2:3] offset:16
.LBB4_1275:
	s_wait_xcnt 0x0
	s_or_b32 exec_lo, exec_lo, s0
	v_cmp_ne_u32_e32 vcc_lo, 32, v1
	s_and_b32 exec_lo, exec_lo, vcc_lo
	s_cbranch_execz .LBB4_1293
; %bb.1276:
	s_mov_b32 s0, exec_lo
	v_cmpx_ne_u32_e64 v1, v108
	s_xor_b32 s0, exec_lo, s0
	s_cbranch_execz .LBB4_1291
; %bb.1277:
	v_and_b32_e32 v0, 31, v31
	s_mov_b32 s2, exec_lo
	s_delay_alu instid0(VALU_DEP_1)
	v_cmpx_eq_u32_e32 0, v0
	s_cbranch_execz .LBB4_1290
; %bb.1278:
	s_mov_b32 s4, exec_lo
	s_mov_b32 s3, exec_lo
	v_mbcnt_lo_u32_b32 v0, s4, 0
	global_wb scope:SCOPE_DEV
	s_wait_storecnt 0x0
	s_wait_loadcnt_dscnt 0x0
	global_inv scope:SCOPE_DEV
	v_cmpx_eq_u32_e32 0, v0
	s_cbranch_execz .LBB4_1280
; %bb.1279:
	s_bcnt1_i32_b32 s4, s4
	s_delay_alu instid0(SALU_CYCLE_1)
	v_dual_mov_b32 v3, 0 :: v_dual_mov_b32 v2, s4
	s_wait_loadcnt 0x0
	ds_add_u64 v0, v[2:3]
	s_trap 2
.LBB4_1280:
	s_or_b32 exec_lo, exec_lo, s3
	s_trap 2
	ds_load_b64 v[2:3], v2
	s_wait_dscnt 0x0
	v_dual_mov_b32 v1, 0 :: v_dual_lshrrev_b32 v0, 5, v1
	s_mov_b32 s3, exec_lo
	s_delay_alu instid0(VALU_DEP_1) | instskip(NEXT) | instid1(VALU_DEP_1)
	v_add_nc_u64_e32 v[0:1], v[48:49], v[0:1]
	v_cmpx_lt_u64_e64 v[2:3], v[0:1]
	s_cbranch_execz .LBB4_1289
; %bb.1281:
	s_mov_b32 s4, 0
	s_mov_b32 s7, 0
                                        ; implicit-def: $sgpr5
                                        ; implicit-def: $sgpr6
	s_branch .LBB4_1283
.LBB4_1282:                             ;   in Loop: Header=BB4_1283 Depth=1
	s_or_b32 exec_lo, exec_lo, s11
	s_delay_alu instid0(SALU_CYCLE_1) | instskip(NEXT) | instid1(SALU_CYCLE_1)
	s_and_b32 s10, exec_lo, s12
	s_or_b32 s4, s10, s4
	s_and_not1_b32 s5, s5, exec_lo
	s_and_b32 s10, s6, exec_lo
	s_delay_alu instid0(SALU_CYCLE_1)
	s_or_b32 s5, s5, s10
	s_and_not1_b32 exec_lo, exec_lo, s4
	s_cbranch_execz .LBB4_1287
.LBB4_1283:                             ; =>This Inner Loop Header: Depth=1
	s_add_co_i32 s7, s7, 1
	s_delay_alu instid0(SALU_CYCLE_1) | instskip(SKIP_1) | instid1(SALU_CYCLE_1)
	s_cmp_lg_u32 s7, 0x2710
	s_cselect_b32 s10, -1, 0
	s_and_b32 vcc_lo, exec_lo, s10
	s_cbranch_vccz .LBB4_1285
; %bb.1284:                             ;   in Loop: Header=BB4_1283 Depth=1
	s_mov_b32 s12, -1
	s_or_b32 s6, s6, exec_lo
	s_and_saveexec_b32 s11, s10
	s_cbranch_execz .LBB4_1282
	s_branch .LBB4_1286
.LBB4_1285:                             ;   in Loop: Header=BB4_1283 Depth=1
	s_trap 2
	ds_load_b64 v[2:3], v2
	s_and_not1_b32 s10, s10, exec_lo
	s_mov_b32 s7, 0
	s_wait_loadcnt_dscnt 0x0
	flat_load_b32 v2, v[2:3] scope:SCOPE_SYS
	s_wait_loadcnt_dscnt 0x0
	global_inv scope:SCOPE_SYS
	v_cmp_eq_u32_e32 vcc_lo, 0, v2
	s_and_b32 s11, vcc_lo, exec_lo
	s_delay_alu instid0(SALU_CYCLE_1)
	s_or_b32 s10, s10, s11
	s_mov_b32 s12, -1
	s_or_b32 s6, s6, exec_lo
	s_and_saveexec_b32 s11, s10
	s_cbranch_execz .LBB4_1282
.LBB4_1286:                             ;   in Loop: Header=BB4_1283 Depth=1
	s_sleep 1
	s_trap 2
	ds_load_b64 v[2:3], v2
	s_wait_dscnt 0x0
	s_and_not1_b32 s6, s6, exec_lo
	v_cmp_ge_u64_e32 vcc_lo, v[2:3], v[0:1]
	s_or_not1_b32 s12, vcc_lo, exec_lo
	s_branch .LBB4_1282
.LBB4_1287:
	s_or_b32 exec_lo, exec_lo, s4
	s_and_saveexec_b32 s4, s5
	s_delay_alu instid0(SALU_CYCLE_1)
	s_xor_b32 s4, exec_lo, s4
	s_cbranch_execz .LBB4_1289
; %bb.1288:
	v_mov_b32_e32 v0, 1
	ds_store_b32 v1, v0
	s_trap 2
.LBB4_1289:
	s_or_b32 exec_lo, exec_lo, s3
	;;#ASMSTART
	s_wakeup
	;;#ASMEND
.LBB4_1290:
	s_or_b32 exec_lo, exec_lo, s2
.LBB4_1291:
	s_and_not1_saveexec_b32 s0, s0
	s_cbranch_execz .LBB4_1293
; %bb.1292:
	global_wb scope:SCOPE_DEV
	s_wait_storecnt 0x0
	s_wait_loadcnt_dscnt 0x0
	global_inv scope:SCOPE_DEV
	s_barrier_signal -1
	s_barrier_wait -1
.LBB4_1293:
	s_or_b32 exec_lo, exec_lo, s1
.LBB4_1294:
	s_and_not1_saveexec_b32 s21, s46
	s_cbranch_execz .LBB4_1296
; %bb.1295:
	s_get_pc_i64 s[0:1]
	s_add_nc_u64 s[0:1], s[0:1], __PRETTY_FUNCTION__._ZN10PrimitivesIm14FuncSumPostDivImE12FanSymmetricILi1EELi0E11ProtoSimpleILi2ELi2ELi0ELi2ELi0ELi0EELi0ELb0ELi0ELi0ELi0EEC2EiiPKiS8_PKvPvmhhhP15ncclDevWorkCollP14ncclDevWorkP2pii@rel64+4
	s_get_pc_i64 s[2:3]
	s_add_nc_u64 s[2:3], s[2:3], __assert_fail@rel64+4
	v_dual_mov_b32 v0, s0 :: v_dual_mov_b32 v1, s1
	s_swap_pc_i64 s[30:31], s[2:3]
	; divergent unreachable
.LBB4_1296:
	s_or_b32 exec_lo, exec_lo, s21
	s_clause 0x2c
	scratch_load_b32 v124, off, s33
	scratch_load_b32 v123, off, s33 offset:4
	scratch_load_b32 v122, off, s33 offset:8
	;; [unrolled: 1-line block ×44, first 2 shown]
	v_readlane_b32 s30, v125, 0
	v_readlane_b32 s31, v125, 1
	s_mov_b32 s32, s33
	s_wait_xcnt 0x0
	s_or_saveexec_b32 s0, -1
	scratch_load_b32 v125, off, s33 offset:196 ; 4-byte Folded Reload
	s_wait_xcnt 0x0
	s_mov_b32 exec_lo, s0
	s_mov_b32 s33, s89
	s_wait_loadcnt_dscnt 0x0
	s_set_pc_i64 s[30:31]
.Lfunc_end4:
	.size	_ZN12_GLOBAL__N_17runRingIm14FuncSumPostDivImE11ProtoSimpleILi2ELi2ELi0ELi2ELi0ELi0EELi0ELi0ELi2ELi0EEEviiP15ncclDevWorkColl, .Lfunc_end4-_ZN12_GLOBAL__N_17runRingIm14FuncSumPostDivImE11ProtoSimpleILi2ELi2ELi0ELi2ELi0ELi0EELi0ELi0ELi2ELi0EEEviiP15ncclDevWorkColl
                                        ; -- End function
	.set .L_ZN12_GLOBAL__N_17runRingIm14FuncSumPostDivImE11ProtoSimpleILi2ELi2ELi0ELi2ELi0ELi0EELi0ELi0ELi2ELi0EEEviiP15ncclDevWorkColl.num_vgpr, max(126, .L__assert_fail.num_vgpr)
	.set .L_ZN12_GLOBAL__N_17runRingIm14FuncSumPostDivImE11ProtoSimpleILi2ELi2ELi0ELi2ELi0ELi0EELi0ELi0ELi2ELi0EEEviiP15ncclDevWorkColl.num_agpr, max(0, .L__assert_fail.num_agpr)
	.set .L_ZN12_GLOBAL__N_17runRingIm14FuncSumPostDivImE11ProtoSimpleILi2ELi2ELi0ELi2ELi0ELi0EELi0ELi0ELi2ELi0EEEviiP15ncclDevWorkColl.numbered_sgpr, max(90, .L__assert_fail.numbered_sgpr)
	.set .L_ZN12_GLOBAL__N_17runRingIm14FuncSumPostDivImE11ProtoSimpleILi2ELi2ELi0ELi2ELi0ELi0EELi0ELi0ELi2ELi0EEEviiP15ncclDevWorkColl.num_named_barrier, max(0, .L__assert_fail.num_named_barrier)
	.set .L_ZN12_GLOBAL__N_17runRingIm14FuncSumPostDivImE11ProtoSimpleILi2ELi2ELi0ELi2ELi0ELi0EELi0ELi0ELi2ELi0EEEviiP15ncclDevWorkColl.private_seg_size, 208+max(.L__assert_fail.private_seg_size)
	.set .L_ZN12_GLOBAL__N_17runRingIm14FuncSumPostDivImE11ProtoSimpleILi2ELi2ELi0ELi2ELi0ELi0EELi0ELi0ELi2ELi0EEEviiP15ncclDevWorkColl.uses_vcc, or(1, .L__assert_fail.uses_vcc)
	.set .L_ZN12_GLOBAL__N_17runRingIm14FuncSumPostDivImE11ProtoSimpleILi2ELi2ELi0ELi2ELi0ELi0EELi0ELi0ELi2ELi0EEEviiP15ncclDevWorkColl.uses_flat_scratch, or(1, .L__assert_fail.uses_flat_scratch)
	.set .L_ZN12_GLOBAL__N_17runRingIm14FuncSumPostDivImE11ProtoSimpleILi2ELi2ELi0ELi2ELi0ELi0EELi0ELi0ELi2ELi0EEEviiP15ncclDevWorkColl.has_dyn_sized_stack, or(0, .L__assert_fail.has_dyn_sized_stack)
	.set .L_ZN12_GLOBAL__N_17runRingIm14FuncSumPostDivImE11ProtoSimpleILi2ELi2ELi0ELi2ELi0ELi0EELi0ELi0ELi2ELi0EEEviiP15ncclDevWorkColl.has_recursion, or(1, .L__assert_fail.has_recursion)
	.set .L_ZN12_GLOBAL__N_17runRingIm14FuncSumPostDivImE11ProtoSimpleILi2ELi2ELi0ELi2ELi0ELi0EELi0ELi0ELi2ELi0EEEviiP15ncclDevWorkColl.has_indirect_call, or(0, .L__assert_fail.has_indirect_call)
	.section	.AMDGPU.csdata,"",@progbits
; Function info:
; codeLenInByte = 75336
; TotalNumSgprs: 92
; NumVgprs: 126
; ScratchSize: 272
; MemoryBound: 1
	.text
	.p2align	2                               ; -- Begin function _Z54ncclDevFunc_AllReduce_RING_SIMPLE_SumPostDiv_u64_0_0_2v
	.type	_Z54ncclDevFunc_AllReduce_RING_SIMPLE_SumPostDiv_u64_0_0_2v,@function
_Z54ncclDevFunc_AllReduce_RING_SIMPLE_SumPostDiv_u64_0_0_2v: ; @_Z54ncclDevFunc_AllReduce_RING_SIMPLE_SumPostDiv_u64_0_0_2v
; %bb.0:
	s_wait_loadcnt_dscnt 0x0
	s_wait_kmcnt 0x0
	s_mov_b32 s0, s33
	s_mov_b32 s33, s32
	s_or_saveexec_b32 s1, -1
	scratch_store_b32 off, v42, s33 offset:12 ; 4-byte Folded Spill
	s_wait_xcnt 0x0
	s_mov_b32 exec_lo, s1
	v_writelane_b32 v42, s0, 2
	s_add_co_i32 s32, s32, 32
	s_clause 0x2
	scratch_store_b32 off, v40, s33 offset:8
	; meta instruction
	scratch_store_b32 off, v41, s33 offset:4
	; meta instruction
	scratch_store_b32 off, v125, s33
	v_writelane_b32 v42, s30, 0
	v_writelane_b32 v42, s31, 1
	s_trap 2
	ds_load_b32 v0, v0
	s_wait_xcnt 0x2
	v_mov_b32_e32 v40, v31
	s_mov_b32 s92, s12
	s_mov_b64 s[90:91], s[8:9]
	s_mov_b32 s2, exec_lo
	s_wait_xcnt 0x1
	v_and_b32_e32 v41, 0x3ff, v40
	s_wait_dscnt 0x0
	s_wait_xcnt 0x0
	s_delay_alu instid0(VALU_DEP_1)
	v_cmpx_lt_i32_e64 v41, v0
	s_cbranch_execz .LBB5_5
; %bb.1:
	s_load_b32 s0, s[90:91], 0x0
	s_bfe_u32 s1, ttmp6, 0x4000c
	s_and_b32 s3, ttmp6, 15
	s_add_co_i32 s1, s1, 1
	s_getreg_b32 s4, hwreg(HW_REG_IB_STS2, 6, 4)
	s_mul_i32 s1, ttmp9, s1
	v_mov_b32_e32 v2, v41
	s_add_co_i32 s3, s3, s1
	s_cmp_eq_u32 s4, 0
                                        ; implicit-def: $vgpr3
	s_cselect_b32 s1, ttmp9, s3
	s_wait_kmcnt 0x0
	s_cmp_lt_u32 s1, s0
	s_mov_b32 s1, 0
	s_cselect_b32 s0, 12, 18
	s_delay_alu instid0(SALU_CYCLE_1)
	s_add_nc_u64 s[4:5], s[90:91], s[0:1]
	s_load_u16 s0, s[4:5], 0x0
	s_trap 2
	ds_load_b32 v1, v0
	s_wait_dscnt 0x0
	s_wait_kmcnt 0x0
	v_mul_lo_u32 v1, v1, s0
	s_branch .LBB5_3
.LBB5_2:                                ;   in Loop: Header=BB5_3 Depth=1
	s_wait_xcnt 0x0
	s_or_b32 exec_lo, exec_lo, s3
	v_dual_add_nc_u32 v2, s0, v2 :: v_dual_add_nc_u32 v3, v3, v1
	s_delay_alu instid0(VALU_DEP_1) | instskip(SKIP_1) | instid1(SALU_CYCLE_1)
	v_cmp_ge_i32_e32 vcc_lo, v2, v0
	s_or_b32 s1, vcc_lo, s1
	s_and_not1_b32 exec_lo, exec_lo, s1
	s_cbranch_execz .LBB5_5
.LBB5_3:                                ; =>This Inner Loop Header: Depth=1
	ds_load_b32 v4, v3
	s_mov_b32 s3, exec_lo
	s_wait_dscnt 0x0
	v_and_b32_e32 v4, 0x1000000, v4
	s_delay_alu instid0(VALU_DEP_1)
	v_cmpx_ne_u32_e32 0, v4
	s_cbranch_execz .LBB5_2
; %bb.4:                                ;   in Loop: Header=BB5_3 Depth=1
	ds_load_b64 v[4:5], v3 offset:104
	s_wait_dscnt 0x0
	flat_load_b64 v[4:5], v[4:5]
	s_wait_loadcnt_dscnt 0x0
	ds_store_b64 v3, v[4:5] offset:104
	s_branch .LBB5_2
.LBB5_5:
	s_or_b32 exec_lo, exec_lo, s2
	s_wait_storecnt_dscnt 0x0
	s_barrier_signal -1
	s_barrier_wait -1
	s_trap 2
	ds_load_b32 v0, v0
	s_wait_dscnt 0x0
	v_cmp_gt_i32_e32 vcc_lo, 1, v0
	s_cbranch_vccnz .LBB5_13
; %bb.6:
	s_mov_b32 s93, 0
	s_get_pc_i64 s[94:95]
	s_add_nc_u64 s[94:95], s[94:95], _ZN12_GLOBAL__N_17runRingIm14FuncSumPostDivImE11ProtoSimpleILi2ELi2ELi0ELi2ELi0ELi0EELi0ELi0ELi2ELi0EEEviiP15ncclDevWorkColl@rel64+4
	s_branch .LBB5_8
.LBB5_7:                                ;   in Loop: Header=BB5_8 Depth=1
	s_or_b32 exec_lo, exec_lo, vcc_hi
	s_trap 2
	ds_load_b32 v0, v0
	s_add_co_i32 s93, s93, 1
	s_wait_dscnt 0x0
	v_cmp_lt_i32_e32 vcc_lo, s93, v0
	s_cbranch_vccz .LBB5_13
.LBB5_8:                                ; =>This Inner Loop Header: Depth=1
	s_trap 2
	ds_load_b32 v0, v0
	s_cmp_eq_u32 s93, 0
	s_cbranch_scc1 .LBB5_11
; %bb.9:                                ;   in Loop: Header=BB5_8 Depth=1
	s_trap 2
	s_wait_dscnt 0x0
	ds_load_b32 v1, v0
	s_wait_dscnt 0x0
	v_xor_b32_e32 v1, v1, v0
	s_delay_alu instid0(VALU_DEP_1) | instskip(NEXT) | instid1(VALU_DEP_1)
	v_and_b32_e32 v1, 0xff0000, v1
	v_cmp_eq_u32_e32 vcc_lo, 0, v1
	s_cbranch_vccnz .LBB5_11
; %bb.10:                               ;   in Loop: Header=BB5_8 Depth=1
	s_barrier_signal -1
	s_barrier_wait -1
	ds_load_b32 v0, v0
.LBB5_11:                               ;   in Loop: Header=BB5_8 Depth=1
	s_wait_dscnt 0x0
	v_lshrrev_b32_e32 v0, 11, v0
	s_mov_b32 vcc_hi, exec_lo
	s_delay_alu instid0(VALU_DEP_1) | instskip(NEXT) | instid1(VALU_DEP_1)
	v_and_b32_e32 v1, 0x1fe0, v0
	v_cmpx_lt_u32_e64 v41, v1
	s_cbranch_execz .LBB5_7
; %bb.12:                               ;   in Loop: Header=BB5_8 Depth=1
	s_mov_b64 s[0:1], src_shared_base
	v_dual_mov_b32 v31, v40 :: v_dual_mov_b32 v0, v41
	v_mov_b32_e32 v3, s1
	s_mov_b64 s[8:9], s[90:91]
	s_mov_b32 s12, s92
	s_swap_pc_i64 s[30:31], s[94:95]
	s_branch .LBB5_7
.LBB5_13:
	s_clause 0x2
	scratch_load_b32 v125, off, s33
	scratch_load_b32 v41, off, s33 offset:4
	scratch_load_b32 v40, off, s33 offset:8
	v_readlane_b32 s30, v42, 0
	v_readlane_b32 s31, v42, 1
	s_mov_b32 s32, s33
	v_readlane_b32 s0, v42, 2
	s_wait_xcnt 0x0
	s_or_saveexec_b32 s1, -1
	scratch_load_b32 v42, off, s33 offset:12 ; 4-byte Folded Reload
	s_wait_xcnt 0x0
	s_mov_b32 exec_lo, s1
	s_mov_b32 s33, s0
	s_wait_loadcnt 0x0
	s_set_pc_i64 s[30:31]
.Lfunc_end5:
	.size	_Z54ncclDevFunc_AllReduce_RING_SIMPLE_SumPostDiv_u64_0_0_2v, .Lfunc_end5-_Z54ncclDevFunc_AllReduce_RING_SIMPLE_SumPostDiv_u64_0_0_2v
                                        ; -- End function
	.set .L_Z54ncclDevFunc_AllReduce_RING_SIMPLE_SumPostDiv_u64_0_0_2v.num_vgpr, max(126, .L_ZN12_GLOBAL__N_17runRingIm14FuncSumPostDivImE11ProtoSimpleILi2ELi2ELi0ELi2ELi0ELi0EELi0ELi0ELi2ELi0EEEviiP15ncclDevWorkColl.num_vgpr)
	.set .L_Z54ncclDevFunc_AllReduce_RING_SIMPLE_SumPostDiv_u64_0_0_2v.num_agpr, max(0, .L_ZN12_GLOBAL__N_17runRingIm14FuncSumPostDivImE11ProtoSimpleILi2ELi2ELi0ELi2ELi0ELi0EELi0ELi0ELi2ELi0EEEviiP15ncclDevWorkColl.num_agpr)
	.set .L_Z54ncclDevFunc_AllReduce_RING_SIMPLE_SumPostDiv_u64_0_0_2v.numbered_sgpr, max(96, .L_ZN12_GLOBAL__N_17runRingIm14FuncSumPostDivImE11ProtoSimpleILi2ELi2ELi0ELi2ELi0ELi0EELi0ELi0ELi2ELi0EEEviiP15ncclDevWorkColl.numbered_sgpr)
	.set .L_Z54ncclDevFunc_AllReduce_RING_SIMPLE_SumPostDiv_u64_0_0_2v.num_named_barrier, max(0, .L_ZN12_GLOBAL__N_17runRingIm14FuncSumPostDivImE11ProtoSimpleILi2ELi2ELi0ELi2ELi0ELi0EELi0ELi0ELi2ELi0EEEviiP15ncclDevWorkColl.num_named_barrier)
	.set .L_Z54ncclDevFunc_AllReduce_RING_SIMPLE_SumPostDiv_u64_0_0_2v.private_seg_size, 32+max(.L_ZN12_GLOBAL__N_17runRingIm14FuncSumPostDivImE11ProtoSimpleILi2ELi2ELi0ELi2ELi0ELi0EELi0ELi0ELi2ELi0EEEviiP15ncclDevWorkColl.private_seg_size)
	.set .L_Z54ncclDevFunc_AllReduce_RING_SIMPLE_SumPostDiv_u64_0_0_2v.uses_vcc, or(1, .L_ZN12_GLOBAL__N_17runRingIm14FuncSumPostDivImE11ProtoSimpleILi2ELi2ELi0ELi2ELi0ELi0EELi0ELi0ELi2ELi0EEEviiP15ncclDevWorkColl.uses_vcc)
	.set .L_Z54ncclDevFunc_AllReduce_RING_SIMPLE_SumPostDiv_u64_0_0_2v.uses_flat_scratch, or(1, .L_ZN12_GLOBAL__N_17runRingIm14FuncSumPostDivImE11ProtoSimpleILi2ELi2ELi0ELi2ELi0ELi0EELi0ELi0ELi2ELi0EEEviiP15ncclDevWorkColl.uses_flat_scratch)
	.set .L_Z54ncclDevFunc_AllReduce_RING_SIMPLE_SumPostDiv_u64_0_0_2v.has_dyn_sized_stack, or(0, .L_ZN12_GLOBAL__N_17runRingIm14FuncSumPostDivImE11ProtoSimpleILi2ELi2ELi0ELi2ELi0ELi0EELi0ELi0ELi2ELi0EEEviiP15ncclDevWorkColl.has_dyn_sized_stack)
	.set .L_Z54ncclDevFunc_AllReduce_RING_SIMPLE_SumPostDiv_u64_0_0_2v.has_recursion, or(1, .L_ZN12_GLOBAL__N_17runRingIm14FuncSumPostDivImE11ProtoSimpleILi2ELi2ELi0ELi2ELi0ELi0EELi0ELi0ELi2ELi0EEEviiP15ncclDevWorkColl.has_recursion)
	.set .L_Z54ncclDevFunc_AllReduce_RING_SIMPLE_SumPostDiv_u64_0_0_2v.has_indirect_call, or(0, .L_ZN12_GLOBAL__N_17runRingIm14FuncSumPostDivImE11ProtoSimpleILi2ELi2ELi0ELi2ELi0ELi0EELi0ELi0ELi2ELi0EEEviiP15ncclDevWorkColl.has_indirect_call)
	.section	.AMDGPU.csdata,"",@progbits
; Function info:
; codeLenInByte = 756
; TotalNumSgprs: 98
; NumVgprs: 126
; ScratchSize: 304
; MemoryBound: 0
	.text
	.p2align	2                               ; -- Begin function _ZN12_GLOBAL__N_17runRingIm14FuncSumPostDivImE11ProtoSimpleILi2ELi2ELi0ELi4ELi0ELi0EELi0ELi0ELi4ELi0EEEviiP15ncclDevWorkColl
	.type	_ZN12_GLOBAL__N_17runRingIm14FuncSumPostDivImE11ProtoSimpleILi2ELi2ELi0ELi4ELi0ELi0EELi0ELi0ELi4ELi0EEEviiP15ncclDevWorkColl,@function
_ZN12_GLOBAL__N_17runRingIm14FuncSumPostDivImE11ProtoSimpleILi2ELi2ELi0ELi4ELi0ELi0EELi0ELi0ELi4ELi0EEEviiP15ncclDevWorkColl: ; @_ZN12_GLOBAL__N_17runRingIm14FuncSumPostDivImE11ProtoSimpleILi2ELi2ELi0ELi4ELi0ELi0EELi0ELi0ELi4ELi0EEEviiP15ncclDevWorkColl
; %bb.0:
	s_wait_loadcnt_dscnt 0x0
	s_wait_kmcnt 0x0
	s_mov_b32 s89, s33
	s_mov_b32 s33, s32
	s_or_saveexec_b32 s0, -1
	scratch_store_b32 off, v127, s33 offset:224 ; 4-byte Folded Spill
	s_wait_xcnt 0x0
	s_mov_b32 exec_lo, s0
	s_addk_co_i32 s32, 0xf0
	s_clause 0x2e
	scratch_store_b32 off, v40, s33 offset:184
	; meta instruction
	scratch_store_b32 off, v41, s33 offset:180
	; meta instruction
	scratch_store_b32 off, v42, s33 offset:176
	; meta instruction
	scratch_store_b32 off, v43, s33 offset:172
	; meta instruction
	scratch_store_b32 off, v44, s33 offset:168
	; meta instruction
	scratch_store_b32 off, v45, s33 offset:164
	; meta instruction
	scratch_store_b32 off, v46, s33 offset:160
	; meta instruction
	scratch_store_b32 off, v47, s33 offset:156
	; meta instruction
	scratch_store_b32 off, v56, s33 offset:152
	; meta instruction
	scratch_store_b32 off, v57, s33 offset:148
	; meta instruction
	scratch_store_b32 off, v58, s33 offset:144
	; meta instruction
	scratch_store_b32 off, v59, s33 offset:140
	; meta instruction
	scratch_store_b32 off, v60, s33 offset:136
	; meta instruction
	scratch_store_b32 off, v61, s33 offset:132
	; meta instruction
	scratch_store_b32 off, v62, s33 offset:128
	; meta instruction
	scratch_store_b32 off, v63, s33 offset:124
	; meta instruction
	scratch_store_b32 off, v72, s33 offset:120
	; meta instruction
	scratch_store_b32 off, v73, s33 offset:116
	; meta instruction
	scratch_store_b32 off, v74, s33 offset:112
	; meta instruction
	scratch_store_b32 off, v75, s33 offset:108
	; meta instruction
	scratch_store_b32 off, v76, s33 offset:104
	; meta instruction
	scratch_store_b32 off, v77, s33 offset:100
	; meta instruction
	scratch_store_b32 off, v78, s33 offset:96
	; meta instruction
	scratch_store_b32 off, v79, s33 offset:92
	; meta instruction
	scratch_store_b32 off, v88, s33 offset:88
	; meta instruction
	scratch_store_b32 off, v89, s33 offset:84
	; meta instruction
	scratch_store_b32 off, v90, s33 offset:80
	; meta instruction
	scratch_store_b32 off, v91, s33 offset:76
	; meta instruction
	scratch_store_b32 off, v92, s33 offset:72
	; meta instruction
	scratch_store_b32 off, v93, s33 offset:68
	; meta instruction
	scratch_store_b32 off, v94, s33 offset:64
	; meta instruction
	scratch_store_b32 off, v95, s33 offset:60
	; meta instruction
	scratch_store_b32 off, v104, s33 offset:56
	; meta instruction
	scratch_store_b32 off, v105, s33 offset:52
	; meta instruction
	scratch_store_b32 off, v106, s33 offset:48
	; meta instruction
	scratch_store_b32 off, v107, s33 offset:44
	; meta instruction
	scratch_store_b32 off, v108, s33 offset:40
	; meta instruction
	scratch_store_b32 off, v109, s33 offset:36
	; meta instruction
	scratch_store_b32 off, v110, s33 offset:32
	; meta instruction
	scratch_store_b32 off, v111, s33 offset:28
	; meta instruction
	scratch_store_b32 off, v120, s33 offset:24
	; meta instruction
	scratch_store_b32 off, v121, s33 offset:20
	; meta instruction
	scratch_store_b32 off, v122, s33 offset:16
	; meta instruction
	scratch_store_b32 off, v123, s33 offset:12
	; meta instruction
	scratch_store_b32 off, v124, s33 offset:8
	; meta instruction
	scratch_store_b32 off, v125, s33 offset:4
	; meta instruction
	scratch_store_b32 off, v126, s33
	v_writelane_b32 v127, s30, 0
	v_writelane_b32 v127, s31, 1
	s_trap 2
	flat_load_b32 v7, v[2:3]
	ds_load_b32 v6, v4
	s_mov_b32 s0, exec_lo
                                        ; implicit-def: $vgpr4_vgpr5
                                        ; implicit-def: $vgpr14_vgpr15
                                        ; kill: killed $vgpr4_vgpr5
                                        ; implicit-def: $vgpr4_vgpr5
	s_wait_dscnt 0x0
	v_readfirstlane_b32 s18, v6
	s_wait_loadcnt 0x0
	v_and_b32_e32 v8, 0xff, v7
	s_wait_xcnt 0x0
	s_delay_alu instid0(VALU_DEP_1)
	v_cmpx_ne_u32_e64 v6, v8
	s_xor_b32 s0, exec_lo, s0
	s_cbranch_execz .LBB6_6
; %bb.1:
	v_bfe_u32 v9, v7, 8, 8
	v_not_b32_e32 v8, v8
	s_mov_b32 s1, exec_lo
                                        ; implicit-def: $vgpr4_vgpr5
                                        ; implicit-def: $vgpr14_vgpr15
                                        ; kill: killed $vgpr4_vgpr5
                                        ; implicit-def: $vgpr4_vgpr5
	s_delay_alu instid0(VALU_DEP_2)
	v_cmpx_ne_u32_e64 v6, v9
	s_xor_b32 s1, exec_lo, s1
	s_cbranch_execz .LBB6_3
; %bb.2:
	s_clause 0x1
	flat_load_b128 v[10:13], v[2:3] offset:72
	flat_load_b64 v[4:5], v[2:3] offset:96
	v_add_nc_u32_e32 v6, v6, v8
	s_wait_loadcnt_dscnt 0x101
	s_delay_alu instid0(VALU_DEP_1) | instskip(SKIP_3) | instid1(VALU_DEP_3)
	v_mad_nc_u64_u32 v[8:9], v12, v6, v[10:11]
	s_wait_loadcnt_dscnt 0x0
	v_lshrrev_b64 v[14:15], 15, v[4:5]
	v_mov_b64_e32 v[4:5], v[12:13]
	v_mad_u32 v7, v13, v6, v9
	v_ashrrev_i32_e32 v6, 31, v6
	s_delay_alu instid0(VALU_DEP_1)
	v_mad_u32 v9, v12, v6, v7
	scratch_store_b64 off, v[8:9], s33 offset:188 ; 8-byte Folded Spill
                                        ; implicit-def: $vgpr9
                                        ; implicit-def: $vgpr8
.LBB6_3:
	s_wait_xcnt 0x0
	s_and_not1_saveexec_b32 s1, s1
	s_cbranch_execz .LBB6_5
; %bb.4:
	s_clause 0x1
	flat_load_b128 v[10:13], v[2:3] offset:72
	flat_load_b128 v[4:7], v[2:3] offset:88
	s_wait_loadcnt_dscnt 0x0
	v_dual_add_nc_u32 v6, v9, v8 :: v_dual_lshrrev_b32 v14, 4, v7
	s_delay_alu instid0(VALU_DEP_1) | instskip(NEXT) | instid1(VALU_DEP_1)
	v_mad_nc_u64_u32 v[10:11], v12, v6, v[10:11]
	v_mad_u32 v8, v13, v6, v11
	v_ashrrev_i32_e32 v6, 31, v6
	s_delay_alu instid0(VALU_DEP_1)
	v_mad_u32 v11, v12, v6, v8
	scratch_store_b64 off, v[10:11], s33 offset:188 ; 8-byte Folded Spill
.LBB6_5:
	s_wait_xcnt 0x0
	s_or_b32 exec_lo, exec_lo, s1
.LBB6_6:
	s_and_not1_saveexec_b32 s0, s0
	s_cbranch_execz .LBB6_8
; %bb.7:
	s_clause 0x1
	flat_load_b64 v[6:7], v[2:3] offset:96
	flat_load_b64 v[4:5], v[2:3] offset:72
	s_wait_loadcnt_dscnt 0x101
	v_lshlrev_b64_e32 v[14:15], 6, v[6:7]
	v_mov_b64_e32 v[6:7], 0
	scratch_store_b64 off, v[6:7], s33 offset:188 ; 8-byte Folded Spill
.LBB6_8:
	s_wait_xcnt 0x0
	s_or_b32 exec_lo, exec_lo, s0
	s_trap 2
	ds_load_b64 v[6:7], v7
	s_mov_b32 s1, 0
	s_mov_b32 s2, exec_lo
	s_wait_dscnt 0x0
	v_cmp_ne_u32_e32 vcc_lo, -1, v6
	v_cndmask_b32_e64 v15, 0, 1, vcc_lo
	v_cmp_ne_u32_e32 vcc_lo, -1, v7
	s_delay_alu instid0(VALU_DEP_2) | instskip(NEXT) | instid1(VALU_DEP_1)
	v_add_co_ci_u32_e64 v8, null, 0, v15, vcc_lo
	v_lshlrev_b32_e32 v6, 1, v8
	s_delay_alu instid0(VALU_DEP_1)
	v_cmpx_le_u32_e64 v6, v1
	s_xor_b32 s46, exec_lo, s2
	s_cbranch_execz .LBB6_1294
; %bb.9:
	s_clause 0x3
	flat_load_b128 v[10:13], v[2:3] offset:16
	flat_load_b64 v[16:17], v[2:3] offset:104
	flat_load_u16 v7, v[2:3] offset:8
	flat_load_b32 v6, v[2:3] offset:4
	s_trap 2
	s_load_b32 s0, s[8:9], 0x0
	s_bfe_u32 s2, ttmp6, 0x4000c
	s_and_b32 s3, ttmp6, 15
	s_add_co_i32 s2, s2, 1
	s_getreg_b32 s4, hwreg(HW_REG_IB_STS2, 6, 4)
	s_mul_i32 s2, ttmp9, s2
	v_dual_mov_b32 v9, 0 :: v_dual_mov_b32 v30, 4
	s_add_co_i32 s3, s3, s2
	s_cmp_eq_u32 s4, 0
	s_cselect_b32 s2, ttmp9, s3
	s_wait_kmcnt 0x0
	s_cmp_lt_u32 s2, s0
	s_cselect_b32 s0, 12, 18
	s_delay_alu instid0(SALU_CYCLE_1)
	s_add_nc_u64 s[0:1], s[8:9], s[0:1]
	global_load_u16 v18, v9, s[0:1]
	s_wait_xcnt 0x0
	ds_load_b32 v9, v19
	s_mov_b32 s1, exec_lo
	s_wait_dscnt 0x0
	v_readfirstlane_b32 s6, v9
	v_cmpx_ge_u32_e64 v0, v15
	s_cbranch_execz .LBB6_19
; %bb.10:
	v_cmp_ge_u32_e64 s0, v0, v8
                                        ; implicit-def: $vgpr30
	s_and_saveexec_b32 s2, s0
	s_delay_alu instid0(SALU_CYCLE_1)
	s_xor_b32 s0, exec_lo, s2
	s_cbranch_execz .LBB6_16
; %bb.11:
	v_cndmask_b32_e64 v9, 0, 1, vcc_lo
	s_mov_b32 s2, exec_lo
	s_delay_alu instid0(VALU_DEP_1) | instskip(NEXT) | instid1(VALU_DEP_1)
	v_sub_nc_u32_e32 v9, v1, v9
	v_cmpx_ge_u32_e64 v0, v9
	s_xor_b32 s2, exec_lo, s2
; %bb.12:
                                        ; implicit-def: $vgpr8
; %bb.13:
	s_delay_alu instid0(SALU_CYCLE_1)
	s_or_saveexec_b32 s2, s2
	v_mov_b32_e32 v30, 16
	s_xor_b32 exec_lo, exec_lo, s2
; %bb.14:
	v_sub_nc_u32_e32 v8, v1, v8
	s_delay_alu instid0(VALU_DEP_1)
	v_cmp_lt_i32_e32 vcc_lo, v0, v8
	v_cndmask_b32_e64 v30, 32, 0, vcc_lo
; %bb.15:
	s_or_b32 exec_lo, exec_lo, s2
.LBB6_16:
	s_and_not1_saveexec_b32 s0, s0
; %bb.17:
	v_mov_b32_e32 v30, 8
; %bb.18:
	s_or_b32 exec_lo, exec_lo, s0
.LBB6_19:
	s_delay_alu instid0(SALU_CYCLE_1) | instskip(NEXT) | instid1(VALU_DEP_1)
	s_or_b32 exec_lo, exec_lo, s1
	v_dual_mov_b32 v19, -1 :: v_dual_bitop2_b32 v8, 36, v30 bitop3:0x40
	s_delay_alu instid0(VALU_DEP_1)
	v_cmp_ne_u32_e32 vcc_lo, 0, v8
	s_and_saveexec_b32 s0, vcc_lo
	s_cbranch_execz .LBB6_21
; %bb.20:
	s_trap 2
	ds_load_b32 v19, v8
.LBB6_21:
	s_or_b32 exec_lo, exec_lo, s0
	v_and_b32_e32 v8, 24, v30
	s_mov_b32 s1, exec_lo
	s_delay_alu instid0(VALU_DEP_1)
	v_cmpx_ne_u32_e32 0, v8
	s_cbranch_execz .LBB6_23
; %bb.22:
	s_trap 2
	s_wait_dscnt 0x0
	ds_load_b32 v19, v8
.LBB6_23:
	s_or_b32 exec_lo, exec_lo, s1
	s_wait_loadcnt 0x1
	v_lshrrev_b64 v[8:9], 31, v[6:7]
	v_mov_b64_e32 v[24:25], 0
	v_mov_b64_e32 v[6:7], 0
                                        ; implicit-def: $vgpr28
                                        ; implicit-def: $vgpr112_vgpr113
                                        ; implicit-def: $vgpr32_vgpr33
                                        ; implicit-def: $vgpr38_vgpr39
                                        ; implicit-def: $vgpr26_vgpr27
	s_delay_alu instid0(VALU_DEP_3)
	v_and_b32_e32 v22, 3, v8
                                        ; implicit-def: $vgpr8_vgpr9
                                        ; kill: killed $vgpr8_vgpr9
	s_and_saveexec_b32 s0, vcc_lo
	s_cbranch_execz .LBB6_33
; %bb.24:
	s_trap 2
	ds_load_b64 v[6:7], v7
	v_and_b32_e32 v8, 0xffff, v22
	s_wait_dscnt 0x0
	v_readfirstlane_b32 s2, v6
	v_readfirstlane_b32 s3, v7
	flat_load_b64 v[6:7], v19, s[2:3] scale_offset
	s_wait_loadcnt_dscnt 0x0
	v_mad_nc_u64_u32 v[8:9], 0xa8, v8, v[6:7]
	flat_load_b32 v6, v[8:9] offset:640
	s_wait_loadcnt_dscnt 0x0
	v_cmp_eq_u32_e32 vcc_lo, 1, v6
                                        ; implicit-def: $vgpr6_vgpr7
                                        ; kill: killed $vgpr6_vgpr7
	s_wait_xcnt 0x0
	s_and_saveexec_b32 s1, vcc_lo
	s_cbranch_execz .LBB6_26
; %bb.25:
	flat_load_b64 v[20:21], v[8:9] offset:648
	v_or_b32_e32 v30, 0x2000, v30
	s_wait_loadcnt_dscnt 0x0
	flat_load_b64 v[6:7], v[20:21]
	s_trap 2
	scratch_store_b64 off, v[20:21], s33 offset:216 ; 8-byte Folded Spill
	s_wait_loadcnt_dscnt 0x0
	ds_store_b64 v20, v[6:7]
	flat_load_b64 v[6:7], v[20:21] offset:8
	s_wait_loadcnt_dscnt 0x0
	ds_store_b64 v20, v[6:7]
	flat_load_b64 v[6:7], v[20:21] offset:16
	s_wait_loadcnt_dscnt 0x0
	ds_store_b64 v20, v[6:7]
.LBB6_26:
	s_wait_xcnt 0x0
	s_or_b32 exec_lo, exec_lo, s1
	flat_load_b64 v[6:7], v[8:9] offset:608
	s_mov_b32 s1, exec_lo
                                        ; implicit-def: $vgpr26_vgpr27
	s_wait_loadcnt_dscnt 0x0
	v_add_nc_u64_e32 v[112:113], 3, v[6:7]
	v_and_b32_e32 v6, 32, v30
	s_delay_alu instid0(VALU_DEP_2) | instskip(SKIP_1) | instid1(VALU_DEP_2)
	v_and_b32_e32 v112, -4, v112
	s_wait_xcnt 0x0
	v_cmpx_ne_u32_e32 0, v6
	s_cbranch_execz .LBB6_28
; %bb.27:
	flat_load_b64 v[26:27], v[8:9] offset:560
	global_wb scope:SCOPE_SYS
	s_wait_storecnt 0x0
	s_wait_xcnt 0x0
	s_wait_loadcnt_dscnt 0x0
	flat_store_b64 v[26:27], v[112:113] scope:SCOPE_SYS
.LBB6_28:
	s_wait_xcnt 0x0
	s_or_b32 exec_lo, exec_lo, s1
	v_add_nc_u64_e32 v[24:25], 0x1f8, v[8:9]
	v_mov_b64_e32 v[6:7], 0
	v_and_b32_e32 v20, 4, v30
	s_mov_b32 s1, exec_lo
                                        ; implicit-def: $vgpr28
                                        ; implicit-def: $vgpr32_vgpr33
                                        ; implicit-def: $vgpr38_vgpr39
	s_delay_alu instid0(VALU_DEP_1)
	v_cmpx_ne_u32_e32 0, v20
	s_cbranch_execz .LBB6_32
; %bb.29:
	v_and_b32_e32 v6, 0x800, v30
	s_mov_b32 s2, exec_lo
	s_delay_alu instid0(VALU_DEP_1)
	v_cmpx_eq_u32_e32 0, v6
	s_cbranch_execz .LBB6_31
; %bb.30:
	s_trap 2
	ds_store_b64 v6, v[24:25]
.LBB6_31:
	s_or_b32 exec_lo, exec_lo, s2
	flat_load_b64 v[26:27], v[8:9] offset:552
	s_wait_loadcnt_dscnt 0x0
	flat_load_b64 v[38:39], v[26:27] scope:SCOPE_SYS
	s_clause 0x2
	flat_load_b32 v20, v[8:9] offset:576
	flat_load_b64 v[6:7], v[8:9] offset:600
	flat_load_b64 v[32:33], v[8:9] offset:520
	s_wait_xcnt 0x0
	v_or_b32_e32 v8, 0x100, v30
	s_wait_loadcnt_dscnt 0x101
	v_cmp_eq_u64_e32 vcc_lo, 0, v[6:7]
	s_delay_alu instid0(VALU_DEP_2)
	v_dual_ashrrev_i32 v28, 3, v20 :: v_dual_cndmask_b32 v30, v8, v30, vcc_lo
.LBB6_32:
	s_or_b32 exec_lo, exec_lo, s1
.LBB6_33:
	s_delay_alu instid0(SALU_CYCLE_1) | instskip(NEXT) | instid1(VALU_DEP_1)
	s_or_b32 exec_lo, exec_lo, s0
	v_and_b32_e32 v8, 24, v30
	s_mov_b32 s0, exec_lo
                                        ; implicit-def: $vgpr34_vgpr35
	s_delay_alu instid0(VALU_DEP_1)
	v_cmpx_ne_u32_e32 0, v8
	s_cbranch_execz .LBB6_41
; %bb.34:
	s_trap 2
	ds_load_b64 v[6:7], v20
	v_and_b32_e32 v8, 0xffff, v22
	s_mov_b32 s1, exec_lo
                                        ; implicit-def: $vgpr34_vgpr35
	s_wait_dscnt 0x0
	v_readfirstlane_b32 s2, v6
	v_readfirstlane_b32 s3, v7
	flat_load_b64 v[6:7], v19, s[2:3] scale_offset
	s_wait_xcnt 0x0
	v_or_b32_e32 v19, 0x100, v30
	s_wait_loadcnt_dscnt 0x0
	v_mad_nc_u64_u32 v[24:25], 0xa8, v8, v[6:7]
	flat_load_b128 v[6:9], v[24:25] offset:96
	s_wait_loadcnt_dscnt 0x0
	v_cmp_eq_u64_e32 vcc_lo, 0, v[6:7]
	v_cndmask_b32_e32 v30, v19, v30, vcc_lo
	s_delay_alu instid0(VALU_DEP_1) | instskip(SKIP_1) | instid1(VALU_DEP_1)
	v_and_b32_e32 v19, 16, v30
	s_wait_xcnt 0x0
	v_cmpx_ne_u32_e32 0, v19
	s_cbranch_execz .LBB6_36
; %bb.35:
	s_clause 0x2
	flat_load_b64 v[26:27], v[24:25] offset:48
	flat_load_b64 v[34:35], v[24:25] offset:120
	;; [unrolled: 1-line block ×3, first 2 shown]
.LBB6_36:
	s_wait_xcnt 0x0
	s_or_b32 exec_lo, exec_lo, s1
	v_add_nc_u64_e32 v[112:113], 3, v[8:9]
	v_and_b32_e32 v8, 8, v30
	s_mov_b32 s1, exec_lo
	s_delay_alu instid0(VALU_DEP_2) | instskip(NEXT) | instid1(VALU_DEP_2)
	v_and_b32_e32 v112, -4, v112
	v_cmpx_ne_u32_e32 0, v8
	s_cbranch_execz .LBB6_40
; %bb.37:
	v_and_b32_e32 v8, 0x800, v30
	s_mov_b32 s2, exec_lo
	s_delay_alu instid0(VALU_DEP_1)
	v_cmpx_eq_u32_e32 0, v8
	s_cbranch_execz .LBB6_39
; %bb.38:
	s_trap 2
	ds_store_b64 v8, v[24:25]
.LBB6_39:
	s_or_b32 exec_lo, exec_lo, s2
	s_wait_loadcnt_dscnt 0x202
	flat_load_b64 v[26:27], v[24:25] offset:56
	s_wait_loadcnt_dscnt 0x0
	flat_load_b64 v[38:39], v[26:27] scope:SCOPE_SYS
	s_clause 0x1
	flat_load_b32 v8, v[24:25] offset:72
	flat_load_b64 v[32:33], v[24:25] offset:16
	s_wait_loadcnt_dscnt 0x101
	v_ashrrev_i32_e32 v28, 3, v8
.LBB6_40:
	s_wait_xcnt 0x0
	s_or_b32 exec_lo, exec_lo, s1
.LBB6_41:
	s_delay_alu instid0(SALU_CYCLE_1)
	s_or_b32 exec_lo, exec_lo, s0
	v_cmp_eq_u32_e64 s0, 0, v0
	s_and_saveexec_b32 s1, s0
	s_cbranch_execz .LBB6_43
; %bb.42:
	flat_load_b64 v[8:9], v[2:3] offset:32
	s_wait_dscnt 0x1
	ds_store_2addr_b64 v19, v[12:13], v[10:11] offset1:1
	s_trap 2
	s_wait_loadcnt_dscnt 0x1
	ds_store_b64 v19, v[8:9]
	ds_store_b64 v19, v[16:17]
.LBB6_43:
	s_wait_xcnt 0x0
	s_or_b32 exec_lo, exec_lo, s1
	v_mov_b64_e32 v[36:37], 0
	s_wait_loadcnt 0x0
	v_and_b32_e32 v10, 0xffff, v18
	s_mov_b32 s47, exec_lo
	v_cmpx_lt_i64_e32 0, v[4:5]
	s_cbranch_execz .LBB6_1260
; %bb.44:
	flat_load_b32 v8, v[2:3] offset:4
	s_wait_xcnt 0x0
	v_and_b32_e32 v2, 0x7ffffc0, v14
	v_dual_mov_b32 v3, 0 :: v_dual_bitop2_b32 v9, 31, v31 bitop3:0x40
	s_ashr_i32 s19, s18, 31
	v_dual_ashrrev_i32 v29, 31, v28 :: v_dual_lshrrev_b32 v48, 5, v1
	s_delay_alu instid0(VALU_DEP_2)
	v_mul_u64_e32 v[22:23], s[18:19], v[2:3]
	s_clause 0x1
	scratch_store_b64 off, v[24:25], s33 offset:204
	scratch_store_b32 off, v10, s33 offset:212
	v_cmp_ne_u32_e64 s3, v1, v10
	s_wait_xcnt 0x0
	v_dual_mov_b32 v121, 1 :: v_dual_lshlrev_b32 v10, 3, v1
	s_ashr_i32 s7, s6, 31
	v_dual_mov_b32 v67, v3 :: v_dual_lshlrev_b32 v66, 9, v48
	s_lshr_b32 s7, s7, 29
	s_delay_alu instid0(VALU_DEP_2)
	v_and_b32_e32 v70, 0xff00, v10
	s_add_co_i32 s13, s6, s7
	s_add_co_i32 s56, s18, s18
	s_not_b32 s12, s18
	s_ashr_i32 s13, s13, 6
	v_dual_mov_b32 v85, v3 :: v_dual_add_nc_u32 v86, 0xfffffe00, v66
	s_cmp_gt_i32 s18, 0
	v_mov_b64_e32 v[102:103], v[2:3]
	s_cselect_b32 s12, s12, -1
	s_lshr_b32 s14, s13, 28
	v_add_nc_u32_e32 v96, 0xffffff00, v70
	v_dual_lshrrev_b32 v120, 5, v0 :: v_dual_bitop2_b32 v20, 31, v0 bitop3:0x40
	s_add_co_i32 s28, s12, s56
	s_add_co_i32 s13, s13, s14
	s_ashr_i32 s29, s28, 31
	s_ashr_i32 s57, s13, 4
	s_cmp_gt_i32 s18, 2
	v_ashrrev_i32_e32 v97, 31, v96
	v_cmp_eq_u32_e64 s6, 0, v9
	v_dual_lshlrev_b32 v9, 4, v20 :: v_dual_mov_b32 v65, v3
	s_cselect_b32 s58, -1, 0
	s_add_co_i32 s13, s18, 1
	v_cmp_ge_u32_e32 vcc_lo, v0, v1
	v_mov_b64_e32 v[50:51], 0
	s_wait_dscnt 0x2
	v_cmp_eq_u64_e64 s4, 0, v[34:35]
	v_cmp_ne_u64_e64 s5, 0, v[34:35]
	v_mov_b64_e32 v[24:25], 0
	v_mov_b64_e32 v[36:37], 0
	v_add_nc_u64_e32 v[100:101], 0x100, v[96:97]
	v_cmp_eq_u32_e64 s1, 32, v1
	v_cmp_ne_u32_e64 s2, 32, v1
	v_dual_mov_b32 v122, 0x90 :: v_dual_mov_b32 v49, v3
	v_dual_mov_b32 v123, 0x88 :: v_dual_lshlrev_b32 v64, 12, v48
	v_cmp_eq_u32_e64 s7, 0, v20
	v_cmp_lt_u32_e64 s10, v20, v15
	v_dual_mov_b32 v69, v3 :: v_dual_lshlrev_b32 v68, 10, v48
	v_dual_mov_b32 v71, v3 :: v_dual_mov_b32 v81, v3
	v_cmp_le_u32_e64 s11, v20, v15
	v_dual_mov_b32 v83, v3 :: v_dual_lshlrev_b32 v82, 11, v48
	v_lshl_or_b32 v80, v120, 11, v9
	v_lshl_or_b32 v84, v120, 12, v9
	s_mov_b32 s21, 0
	s_mov_b64 s[22:23], 0xffffffff
	s_mov_b64 s[24:25], 0x80000000
	s_add_nc_u64 s[26:27], s[18:19], -1
	s_mov_b32 s63, 0
	s_trap 2
	scratch_store_b64 off, v[22:23], s33 offset:196 ; 8-byte Folded Spill
	v_ashrrev_i32_e32 v87, 31, v86
	s_delay_alu instid0(VALU_DEP_1) | instskip(SKIP_2) | instid1(VALU_DEP_1)
	v_add_nc_u64_e32 v[98:99], 0x200, v[86:87]
	s_wait_loadcnt_dscnt 0x0
	v_and_b32_e32 v2, 1, v8
	v_cmp_eq_u32_e64 s12, 1, v2
	s_xor_b32 s59, s12, -1
	s_cmp_ge_i32 s13, s18
	s_cselect_b32 s14, s18, 0
	s_add_co_i32 s60, s18, -2
	s_sub_co_i32 s42, s13, s14
	s_xor_b32 s61, vcc_lo, -1
	s_ashr_i32 s40, s19, 31
	s_sub_co_i32 s62, 0, s18
	s_ashr_i32 s43, s42, 31
	s_branch .LBB6_47
.LBB6_45:                               ;   in Loop: Header=BB6_47 Depth=1
	s_or_b32 exec_lo, exec_lo, s15
.LBB6_46:                               ;   in Loop: Header=BB6_47 Depth=1
	s_delay_alu instid0(SALU_CYCLE_1) | instskip(SKIP_3) | instid1(VALU_DEP_1)
	s_or_b32 exec_lo, exec_lo, s14
	scratch_load_b64 v[22:23], off, s33 offset:196 ; 8-byte Folded Reload
	s_wait_loadcnt 0x0
	v_add_nc_u64_e32 v[24:25], v[24:25], v[22:23]
	v_cmp_ge_i64_e32 vcc_lo, v[24:25], v[4:5]
	s_or_b32 s63, vcc_lo, s63
	s_wait_xcnt 0x0
	s_and_not1_b32 exec_lo, exec_lo, s63
	s_cbranch_execz .LBB6_1259
.LBB6_47:                               ; =>This Loop Header: Depth=1
                                        ;     Child Loop BB6_57 Depth 2
                                        ;       Child Loop BB6_65 Depth 3
                                        ;       Child Loop BB6_89 Depth 3
	;; [unrolled: 1-line block ×9, first 2 shown]
                                        ;     Child Loop BB6_199 Depth 2
                                        ;       Child Loop BB6_205 Depth 3
                                        ;       Child Loop BB6_229 Depth 3
	;; [unrolled: 1-line block ×3, first 2 shown]
                                        ;     Child Loop BB6_273 Depth 2
                                        ;       Child Loop BB6_276 Depth 3
                                        ;         Child Loop BB6_284 Depth 4
                                        ;         Child Loop BB6_312 Depth 4
	;; [unrolled: 1-line block ×9, first 2 shown]
                                        ;       Child Loop BB6_422 Depth 3
                                        ;         Child Loop BB6_428 Depth 4
                                        ;         Child Loop BB6_456 Depth 4
                                        ;         Child Loop BB6_475 Depth 4
                                        ;     Child Loop BB6_497 Depth 2
                                        ;       Child Loop BB6_505 Depth 3
                                        ;       Child Loop BB6_533 Depth 3
	;; [unrolled: 1-line block ×5, first 2 shown]
                                        ;         Child Loop BB6_597 Depth 4
                                        ;       Child Loop BB6_611 Depth 3
                                        ;       Child Loop BB6_621 Depth 3
                                        ;         Child Loop BB6_622 Depth 4
                                        ;       Child Loop BB6_642 Depth 3
                                        ;       Child Loop BB6_652 Depth 3
	;; [unrolled: 1-line block ×6, first 2 shown]
                                        ;     Child Loop BB6_722 Depth 2
                                        ;       Child Loop BB6_728 Depth 3
                                        ;       Child Loop BB6_756 Depth 3
	;; [unrolled: 1-line block ×3, first 2 shown]
                                        ;     Child Loop BB6_797 Depth 2
                                        ;       Child Loop BB6_800 Depth 3
                                        ;         Child Loop BB6_808 Depth 4
                                        ;         Child Loop BB6_836 Depth 4
	;; [unrolled: 1-line block ×5, first 2 shown]
                                        ;           Child Loop BB6_888 Depth 5
                                        ;         Child Loop BB6_895 Depth 4
                                        ;         Child Loop BB6_900 Depth 4
                                        ;           Child Loop BB6_901 Depth 5
                                        ;         Child Loop BB6_913 Depth 4
                                        ;         Child Loop BB6_918 Depth 4
                                        ;         Child Loop BB6_924 Depth 4
                                        ;         Child Loop BB6_929 Depth 4
                                        ;         Child Loop BB6_939 Depth 4
                                        ;         Child Loop BB6_958 Depth 4
                                        ;       Child Loop BB6_977 Depth 3
                                        ;         Child Loop BB6_983 Depth 4
                                        ;         Child Loop BB6_1011 Depth 4
	;; [unrolled: 1-line block ×3, first 2 shown]
                                        ;     Child Loop BB6_1055 Depth 2
                                        ;       Child Loop BB6_1063 Depth 3
                                        ;       Child Loop BB6_1087 Depth 3
	;; [unrolled: 1-line block ×9, first 2 shown]
                                        ;     Child Loop BB6_1193 Depth 2
                                        ;       Child Loop BB6_1199 Depth 3
                                        ;       Child Loop BB6_1223 Depth 3
	;; [unrolled: 1-line block ×3, first 2 shown]
	v_sub_nc_u64_e32 v[114:115], v[4:5], v[24:25]
	s_mov_b32 s16, exec_lo
	s_wait_xcnt 0x0
	s_delay_alu instid0(VALU_DEP_1)
	v_cmpx_lt_i64_e64 v[114:115], v[22:23]
	s_cbranch_execz .LBB6_53
; %bb.48:                               ;   in Loop: Header=BB6_47 Depth=1
	v_add_nc_u64_e32 v[8:9], s[26:27], v[114:115]
	s_delay_alu instid0(VALU_DEP_1) | instskip(NEXT) | instid1(VALU_DEP_1)
	v_dual_mov_b32 v10, v3 :: v_dual_bitop2_b32 v11, s19, v9 bitop3:0x54
	v_cmp_ne_u64_e32 vcc_lo, 0, v[10:11]
                                        ; implicit-def: $vgpr10_vgpr11
	s_and_saveexec_b32 s13, vcc_lo
	s_delay_alu instid0(SALU_CYCLE_1)
	s_xor_b32 s17, exec_lo, s13
	s_cbranch_execz .LBB6_50
; %bb.49:                               ;   in Loop: Header=BB6_47 Depth=1
	s_mov_b32 s41, s40
	v_dual_mov_b32 v15, v3 :: v_dual_ashrrev_i32 v10, 31, v9
	s_add_nc_u64 s[14:15], s[18:19], s[40:41]
	v_mov_b32_e32 v19, v3
	s_xor_b64 s[14:15], s[14:15], s[40:41]
	s_delay_alu instid0(VALU_DEP_2) | instskip(SKIP_3) | instid1(VALU_DEP_1)
	v_mov_b32_e32 v11, v10
	s_cvt_f32_u32 s13, s14
	s_cvt_f32_u32 s20, s15
	s_sub_nc_u64 s[72:73], 0, s[14:15]
	v_add_nc_u64_e32 v[8:9], v[8:9], v[10:11]
	s_delay_alu instid0(SALU_CYCLE_1) | instskip(NEXT) | instid1(SALU_CYCLE_3)
	s_fmamk_f32 s13, s20, 0x4f800000, s13
	v_s_rcp_f32 s13, s13
	s_delay_alu instid0(VALU_DEP_1) | instskip(NEXT) | instid1(VALU_DEP_2)
	v_xor_b32_e32 v2, v8, v10
	v_xor_b32_e32 v14, v9, v10
	;; [unrolled: 1-line block ×3, first 2 shown]
	s_delay_alu instid0(TRANS32_DEP_1) | instskip(NEXT) | instid1(SALU_CYCLE_3)
	s_mul_f32 s13, s13, 0x5f7ffffc
	s_mul_f32 s20, s13, 0x2f800000
	s_delay_alu instid0(SALU_CYCLE_3) | instskip(NEXT) | instid1(SALU_CYCLE_3)
	s_trunc_f32 s20, s20
	s_fmamk_f32 s13, s20, 0xcf800000, s13
	s_cvt_u32_f32 s45, s20
	s_delay_alu instid0(SALU_CYCLE_2) | instskip(NEXT) | instid1(SALU_CYCLE_3)
	s_cvt_u32_f32 s44, s13
	s_mul_u64 s[74:75], s[72:73], s[44:45]
	s_delay_alu instid0(SALU_CYCLE_1)
	s_mul_hi_u32 s77, s44, s75
	s_mul_i32 s76, s44, s75
	s_mul_hi_u32 s20, s44, s74
	s_mul_i32 s41, s45, s74
	s_add_nc_u64 s[76:77], s[20:21], s[76:77]
	s_mul_hi_u32 s13, s45, s74
	s_mul_hi_u32 s78, s45, s75
	s_add_co_u32 s20, s76, s41
	s_add_co_ci_u32 s20, s77, s13
	s_mul_i32 s74, s45, s75
	s_add_co_ci_u32 s75, s78, 0
	s_delay_alu instid0(SALU_CYCLE_1) | instskip(NEXT) | instid1(SALU_CYCLE_1)
	s_add_nc_u64 s[74:75], s[20:21], s[74:75]
	s_add_co_u32 s44, s44, s74
	s_cselect_b32 s13, -1, 0
	s_delay_alu instid0(SALU_CYCLE_1) | instskip(SKIP_1) | instid1(SALU_CYCLE_1)
	s_cmp_lg_u32 s13, 0
	s_add_co_ci_u32 s45, s45, s75
	s_mul_u64 s[72:73], s[72:73], s[44:45]
	s_delay_alu instid0(SALU_CYCLE_1)
	s_mul_hi_u32 s75, s44, s73
	s_mul_i32 s74, s44, s73
	s_mul_hi_u32 s20, s44, s72
	s_mul_i32 s41, s45, s72
	s_add_nc_u64 s[74:75], s[20:21], s[74:75]
	s_mul_hi_u32 s13, s45, s72
	s_mul_hi_u32 s76, s45, s73
	s_add_co_u32 s20, s74, s41
	s_add_co_ci_u32 s20, s75, s13
	s_mul_i32 s72, s45, s73
	s_add_co_ci_u32 s73, s76, 0
	s_delay_alu instid0(SALU_CYCLE_1) | instskip(NEXT) | instid1(SALU_CYCLE_1)
	s_add_nc_u64 s[72:73], s[20:21], s[72:73]
	s_add_co_u32 s44, s44, s72
	s_cselect_b32 s13, -1, 0
	v_mul_hi_u32 v18, v2, s44
	s_cmp_lg_u32 s13, 0
	s_add_co_ci_u32 s20, s45, s73
	s_and_b64 s[72:73], s[44:45], s[22:23]
	v_mul_u64_e32 v[12:13], s[20:21], v[2:3]
	v_mul_u64_e32 v[8:9], s[72:73], v[14:15]
	;; [unrolled: 1-line block ×3, first 2 shown]
	s_delay_alu instid0(VALU_DEP_3) | instskip(NEXT) | instid1(VALU_DEP_1)
	v_add_nc_u64_e32 v[12:13], v[18:19], v[12:13]
	v_add_co_u32 v8, vcc_lo, v12, v8
	s_delay_alu instid0(VALU_DEP_2) | instskip(NEXT) | instid1(VALU_DEP_4)
	v_add_co_ci_u32_e32 v18, vcc_lo, v13, v9, vcc_lo
	v_add_co_ci_u32_e32 v17, vcc_lo, 0, v17, vcc_lo
	s_delay_alu instid0(VALU_DEP_1) | instskip(NEXT) | instid1(VALU_DEP_1)
	v_add_nc_u64_e32 v[8:9], v[18:19], v[16:17]
	v_mul_u64_e32 v[12:13], s[14:15], v[8:9]
	s_delay_alu instid0(VALU_DEP_1) | instskip(NEXT) | instid1(VALU_DEP_2)
	v_sub_nc_u32_e32 v11, v14, v13
	v_sub_co_u32 v2, vcc_lo, v2, v12
	s_delay_alu instid0(VALU_DEP_1) | instskip(NEXT) | instid1(VALU_DEP_3)
	v_sub_co_ci_u32_e64 v16, null, v14, v13, vcc_lo
	v_subrev_co_ci_u32_e64 v11, null, s15, v11, vcc_lo
	s_delay_alu instid0(VALU_DEP_3) | instskip(SKIP_1) | instid1(VALU_DEP_3)
	v_sub_co_u32 v12, s13, v2, s14
	v_add_nc_u64_e32 v[14:15], 1, v[8:9]
	v_subrev_co_ci_u32_e64 v11, null, 0, v11, s13
	s_delay_alu instid0(VALU_DEP_3) | instskip(SKIP_1) | instid1(VALU_DEP_3)
	v_cmp_le_u32_e32 vcc_lo, s14, v12
	v_cndmask_b32_e64 v12, 0, -1, vcc_lo
	v_cmp_le_u32_e32 vcc_lo, s15, v11
	v_cndmask_b32_e64 v13, 0, -1, vcc_lo
	;; [unrolled: 2-line block ×4, first 2 shown]
	v_cmp_eq_u32_e32 vcc_lo, s15, v11
	v_cndmask_b32_e32 v11, v13, v12, vcc_lo
	v_cmp_eq_u32_e32 vcc_lo, s15, v16
	v_add_nc_u64_e32 v[12:13], 2, v[8:9]
	v_cndmask_b32_e32 v2, v17, v2, vcc_lo
	s_delay_alu instid0(VALU_DEP_4) | instskip(NEXT) | instid1(VALU_DEP_2)
	v_cmp_ne_u32_e32 vcc_lo, 0, v11
	v_cmp_ne_u32_e64 s13, 0, v2
	s_delay_alu instid0(VALU_DEP_4) | instskip(NEXT) | instid1(VALU_DEP_1)
	v_dual_cndmask_b32 v11, v15, v13 :: v_dual_cndmask_b32 v2, v14, v12
	v_dual_cndmask_b32 v9, v9, v11, s13 :: v_dual_cndmask_b32 v2, v8, v2, s13
	s_delay_alu instid0(VALU_DEP_1) | instskip(NEXT) | instid1(VALU_DEP_2)
	v_dual_mov_b32 v11, v10 :: v_dual_bitop2_b32 v9, v9, v10 bitop3:0x14
	v_xor_b32_e32 v8, v2, v10
	s_delay_alu instid0(VALU_DEP_1)
	v_sub_nc_u64_e32 v[10:11], v[8:9], v[10:11]
                                        ; implicit-def: $vgpr8_vgpr9
.LBB6_50:                               ;   in Loop: Header=BB6_47 Depth=1
	s_and_not1_saveexec_b32 s13, s17
	s_cbranch_execz .LBB6_52
; %bb.51:                               ;   in Loop: Header=BB6_47 Depth=1
	v_cvt_f32_u32_e32 v2, s18
	s_delay_alu instid0(VALU_DEP_1) | instskip(SKIP_1) | instid1(TRANS32_DEP_1)
	v_rcp_iflag_f32_e32 v2, v2
	v_nop
	v_mul_f32_e32 v2, 0x4f7ffffe, v2
	s_delay_alu instid0(VALU_DEP_1) | instskip(NEXT) | instid1(VALU_DEP_1)
	v_cvt_u32_f32_e32 v2, v2
	v_mul_lo_u32 v9, s62, v2
	s_delay_alu instid0(VALU_DEP_1) | instskip(NEXT) | instid1(VALU_DEP_1)
	v_mul_hi_u32 v9, v2, v9
	v_add_nc_u32_e32 v2, v2, v9
	s_delay_alu instid0(VALU_DEP_1) | instskip(NEXT) | instid1(VALU_DEP_1)
	v_mul_hi_u32 v2, v8, v2
	v_mul_lo_u32 v9, v2, s18
	s_delay_alu instid0(VALU_DEP_1) | instskip(NEXT) | instid1(VALU_DEP_1)
	v_dual_sub_nc_u32 v8, v8, v9 :: v_dual_add_nc_u32 v9, 1, v2
	v_subrev_nc_u32_e32 v10, s18, v8
	v_cmp_le_u32_e32 vcc_lo, s18, v8
	s_delay_alu instid0(VALU_DEP_2) | instskip(NEXT) | instid1(VALU_DEP_1)
	v_dual_cndmask_b32 v8, v8, v10, vcc_lo :: v_dual_cndmask_b32 v2, v2, v9, vcc_lo
	v_cmp_le_u32_e32 vcc_lo, s18, v8
	s_delay_alu instid0(VALU_DEP_2) | instskip(NEXT) | instid1(VALU_DEP_1)
	v_add_nc_u32_e32 v9, 1, v2
	v_cndmask_b32_e32 v2, v2, v9, vcc_lo
	s_delay_alu instid0(VALU_DEP_1)
	v_mov_b64_e32 v[10:11], v[2:3]
.LBB6_52:                               ;   in Loop: Header=BB6_47 Depth=1
	s_or_b32 exec_lo, exec_lo, s13
	s_delay_alu instid0(VALU_DEP_1) | instskip(NEXT) | instid1(VALU_DEP_1)
	v_add_nc_u64_e32 v[102:103], 1, v[10:11]
	v_and_b32_e32 v102, -2, v102
.LBB6_53:                               ;   in Loop: Header=BB6_47 Depth=1
	s_or_b32 exec_lo, exec_lo, s16
	scratch_load_b64 v[10:11], off, s33 offset:188 ; 8-byte Folded Reload
	v_mul_u64_e32 v[12:13], s[28:29], v[102:103]
	s_delay_alu instid0(VALU_DEP_1) | instskip(NEXT) | instid1(VALU_DEP_1)
	v_sub_nc_u64_e32 v[8:9], v[114:115], v[12:13]
	v_min_i64 v[8:9], v[102:103], v[8:9]
	s_delay_alu instid0(VALU_DEP_1) | instskip(SKIP_1) | instid1(VALU_DEP_2)
	v_max_i32_e32 v22, 0, v8
	v_cmp_lt_i32_e32 vcc_lo, 0, v8
	v_add_nc_u32_e32 v2, 31, v22
	s_and_b32 s13, s61, vcc_lo
	s_delay_alu instid0(VALU_DEP_1) | instskip(NEXT) | instid1(VALU_DEP_1)
	v_lshrrev_b32_e32 v2, 1, v2
	v_and_b32_e32 v9, 0x3ffffff0, v2
	s_delay_alu instid0(VALU_DEP_1)
	v_dual_mov_b32 v2, 0 :: v_dual_max_i32 v8, s57, v9
	s_wait_loadcnt 0x0
	v_add_nc_u64_e32 v[116:117], v[24:25], v[10:11]
	v_mov_b32_e32 v10, 0
	s_wait_xcnt 0x0
	s_and_saveexec_b32 s14, s13
	s_cbranch_execz .LBB6_195
; %bb.54:                               ;   in Loop: Header=BB6_47 Depth=1
	v_mov_b32_e32 v10, 0
	s_mov_b32 s17, 1
	s_mov_b32 s16, -1
	s_mov_b32 s15, 0
	s_branch .LBB6_57
.LBB6_55:                               ;   in Loop: Header=BB6_57 Depth=2
	s_wait_xcnt 0x0
	s_or_b32 exec_lo, exec_lo, s20
	v_add_nc_u64_e32 v[112:113], 2, v[112:113]
	global_wb scope:SCOPE_SYS
	s_wait_storecnt 0x0
	s_wait_loadcnt_dscnt 0x0
	flat_store_b64 v[26:27], v[112:113] scope:SCOPE_SYS
.LBB6_56:                               ;   in Loop: Header=BB6_57 Depth=2
	s_wait_xcnt 0x0
	s_or_b32 exec_lo, exec_lo, s13
	v_dual_add_nc_u32 v10, v8, v10 :: v_dual_mov_b32 v2, s17
	s_xor_b32 s13, s16, -1
	s_mov_b32 s16, 0
	s_mov_b32 s17, 2
	s_delay_alu instid0(VALU_DEP_1) | instskip(SKIP_1) | instid1(SALU_CYCLE_1)
	v_cmp_ge_i32_e32 vcc_lo, v10, v22
	s_or_b32 s13, s13, vcc_lo
	s_and_b32 s13, exec_lo, s13
	s_delay_alu instid0(SALU_CYCLE_1) | instskip(NEXT) | instid1(SALU_CYCLE_1)
	s_or_b32 s15, s13, s15
	s_and_not1_b32 exec_lo, exec_lo, s15
	s_cbranch_execz .LBB6_194
.LBB6_57:                               ;   Parent Loop BB6_47 Depth=1
                                        ; =>  This Loop Header: Depth=2
                                        ;       Child Loop BB6_65 Depth 3
                                        ;       Child Loop BB6_89 Depth 3
	;; [unrolled: 1-line block ×9, first 2 shown]
	s_and_saveexec_b32 s13, s0
	s_cbranch_execz .LBB6_59
; %bb.58:                               ;   in Loop: Header=BB6_57 Depth=2
	s_trap 2
	ds_load_b64 v[14:15], v2
	v_ashrrev_i32_e32 v11, 31, v10
	s_wait_dscnt 0x0
	v_lshl_add_u64 v[14:15], v[116:117], 3, v[14:15]
	s_delay_alu instid0(VALU_DEP_1) | instskip(NEXT) | instid1(VALU_DEP_1)
	v_lshl_add_u64 v[14:15], v[12:13], 3, v[14:15]
	v_lshl_add_u64 v[14:15], v[10:11], 3, v[14:15]
	ds_store_b64 v2, v[14:15]
	ds_store_b64 v2, v[50:51]
.LBB6_59:                               ;   in Loop: Header=BB6_57 Depth=2
	s_or_b32 exec_lo, exec_lo, s13
	v_sub_nc_u32_e32 v2, v22, v10
	v_and_b32_e32 v9, 8, v30
	s_mov_b32 s20, exec_lo
	s_delay_alu instid0(VALU_DEP_2) | instskip(NEXT) | instid1(VALU_DEP_2)
	v_min_i32_e32 v8, v8, v2
	v_cmpx_ne_u32_e32 0, v9
	s_cbranch_execz .LBB6_81
; %bb.60:                               ;   in Loop: Header=BB6_57 Depth=2
	s_wait_loadcnt_dscnt 0x1
	v_add_nc_u64_e32 v[16:17], 8, v[38:39]
	v_add_nc_u64_e32 v[14:15], 2, v[112:113]
	s_mov_b32 s41, exec_lo
	s_delay_alu instid0(VALU_DEP_1)
	v_cmpx_lt_u64_e64 v[16:17], v[14:15]
	s_cbranch_execz .LBB6_72
; %bb.61:                               ;   in Loop: Header=BB6_57 Depth=2
	v_and_b32_e32 v2, 64, v30
	s_mov_b32 s44, 0
	s_mov_b32 s74, 0
                                        ; implicit-def: $sgpr45
                                        ; implicit-def: $sgpr72
                                        ; implicit-def: $sgpr73
	s_delay_alu instid0(VALU_DEP_1)
	v_cmp_eq_u32_e32 vcc_lo, 0, v2
	s_branch .LBB6_65
.LBB6_62:                               ;   in Loop: Header=BB6_65 Depth=3
	s_wait_loadcnt_dscnt 0x0
	v_add_nc_u64_e32 v[16:17], 8, v[38:39]
	s_or_b32 s77, s77, exec_lo
	s_delay_alu instid0(VALU_DEP_1)
	v_cmp_ge_u64_e64 s13, v[16:17], v[14:15]
	s_or_not1_b32 s76, s13, exec_lo
.LBB6_63:                               ;   in Loop: Header=BB6_65 Depth=3
	s_or_b32 exec_lo, exec_lo, s79
	s_delay_alu instid0(SALU_CYCLE_1)
	s_and_not1_b32 s13, s73, exec_lo
	s_and_b32 s73, s77, exec_lo
	s_and_not1_b32 s72, s72, exec_lo
	s_and_b32 s76, s76, exec_lo
	s_or_b32 s73, s13, s73
	s_or_b32 s72, s72, s76
.LBB6_64:                               ;   in Loop: Header=BB6_65 Depth=3
	s_or_b32 exec_lo, exec_lo, s75
	s_delay_alu instid0(SALU_CYCLE_1) | instskip(NEXT) | instid1(SALU_CYCLE_1)
	s_and_b32 s13, exec_lo, s72
	s_or_b32 s44, s13, s44
	s_and_not1_b32 s13, s45, exec_lo
	s_and_b32 s45, s73, exec_lo
	s_delay_alu instid0(SALU_CYCLE_1)
	s_or_b32 s45, s13, s45
	s_and_not1_b32 exec_lo, exec_lo, s44
	s_cbranch_execz .LBB6_69
.LBB6_65:                               ;   Parent Loop BB6_47 Depth=1
                                        ;     Parent Loop BB6_57 Depth=2
                                        ; =>    This Inner Loop Header: Depth=3
	s_sleep 1
	s_wait_loadcnt_dscnt 0x0
	flat_load_b64 v[38:39], v[26:27] scope:SCOPE_SYS
	s_or_b32 s73, s73, exec_lo
	s_or_b32 s72, s72, exec_lo
                                        ; implicit-def: $vgpr2
	s_wait_xcnt 0x0
	s_and_saveexec_b32 s75, vcc_lo
	s_cbranch_execz .LBB6_64
; %bb.66:                               ;   in Loop: Header=BB6_65 Depth=3
	s_cmp_lt_i32 s74, 0x270f
	s_mov_b32 s76, -1
	s_cselect_b32 s78, -1, 0
	s_cmp_gt_i32 s74, 0x270e
	s_cbranch_scc0 .LBB6_68
; %bb.67:                               ;   in Loop: Header=BB6_65 Depth=3
	s_trap 2
	ds_load_b64 v[16:17], v9
	s_and_not1_b32 s74, s78, exec_lo
	s_mov_b32 s77, 0
	s_wait_storecnt 0x0
	s_wait_loadcnt_dscnt 0x0
	flat_load_b32 v2, v[16:17] scope:SCOPE_SYS
	s_wait_loadcnt_dscnt 0x0
	global_inv scope:SCOPE_SYS
	v_cmp_eq_u32_e64 s13, 0, v2
	s_and_b32 s13, s13, exec_lo
	s_delay_alu instid0(SALU_CYCLE_1)
	s_or_b32 s78, s74, s13
	s_mov_b32 s74, 0
	s_and_saveexec_b32 s79, s78
	s_cbranch_execz .LBB6_63
	s_branch .LBB6_62
.LBB6_68:                               ;   in Loop: Header=BB6_65 Depth=3
	s_add_co_i32 s74, s74, 1
	s_mov_b32 s77, -1
                                        ; implicit-def: $vgpr2
	s_and_saveexec_b32 s79, s78
	s_cbranch_execz .LBB6_63
	s_branch .LBB6_62
.LBB6_69:                               ;   in Loop: Header=BB6_57 Depth=2
	s_or_b32 exec_lo, exec_lo, s44
	s_xor_b32 s13, s45, -1
	s_delay_alu instid0(SALU_CYCLE_1) | instskip(NEXT) | instid1(SALU_CYCLE_1)
	s_and_saveexec_b32 s44, s13
	s_xor_b32 s13, exec_lo, s44
	s_cbranch_execz .LBB6_71
; %bb.70:                               ;   in Loop: Header=BB6_57 Depth=2
	v_or_b32_e32 v30, 64, v30
	s_wait_storecnt 0x0
	s_wait_loadcnt_dscnt 0x0
	ds_store_b32 v9, v2
	s_trap 2
.LBB6_71:                               ;   in Loop: Header=BB6_57 Depth=2
	s_or_b32 exec_lo, exec_lo, s13
.LBB6_72:                               ;   in Loop: Header=BB6_57 Depth=2
	s_delay_alu instid0(SALU_CYCLE_1) | instskip(SKIP_4) | instid1(VALU_DEP_1)
	s_or_b32 exec_lo, exec_lo, s41
	v_and_b32_e32 v2, 0x100, v30
	s_mov_b32 s41, 0
	s_mov_b32 s13, exec_lo
	;;#ASMSTART
	s_wakeup
	;;#ASMEND
                                        ; implicit-def: $vgpr16_vgpr17
	v_cmpx_ne_u32_e32 0, v2
	s_xor_b32 s13, exec_lo, s13
	s_cbranch_execz .LBB6_93
; %bb.73:                               ;   in Loop: Header=BB6_57 Depth=2
	v_and_b32_e32 v2, 7, v112
	v_ashrrev_i32_e32 v9, 31, v8
	s_mov_b32 s41, -1
	s_mov_b32 s44, exec_lo
	s_delay_alu instid0(VALU_DEP_2) | instskip(NEXT) | instid1(VALU_DEP_2)
	v_mad_nc_u64_u32 v[18:19], v2, 24, v[6:7]
	v_lshlrev_b64_e32 v[16:17], 3, v[8:9]
	s_clause 0x1
	flat_load_b32 v11, v[18:19]
	flat_store_b64 v[18:19], v[16:17] offset:8
                                        ; implicit-def: $vgpr16_vgpr17
	s_wait_loadcnt_dscnt 0x1
	v_cmpx_eq_u32_e32 1, v11
	s_cbranch_execz .LBB6_75
; %bb.74:                               ;   in Loop: Header=BB6_57 Depth=2
	flat_load_b32 v16, v[18:19] offset:4 scope:SCOPE_SYS
	s_xor_b32 s41, exec_lo, -1
	s_wait_loadcnt_dscnt 0x0
	v_ashrrev_i32_e32 v17, 31, v16
	s_delay_alu instid0(VALU_DEP_1)
	v_lshrrev_b64 v[16:17], 3, v[16:17]
.LBB6_75:                               ;   in Loop: Header=BB6_57 Depth=2
	s_wait_xcnt 0x0
	s_or_b32 exec_lo, exec_lo, s44
	s_delay_alu instid0(SALU_CYCLE_1)
	s_and_b32 s41, s41, exec_lo
                                        ; implicit-def: $vgpr112_vgpr113
	s_and_not1_saveexec_b32 s13, s13
	s_cbranch_execnz .LBB6_94
.LBB6_76:                               ;   in Loop: Header=BB6_57 Depth=2
	s_or_b32 exec_lo, exec_lo, s13
	s_and_saveexec_b32 s13, s41
.LBB6_77:                               ;   in Loop: Header=BB6_57 Depth=2
	v_mul_u64_e32 v[16:17], v[2:3], v[28:29]
.LBB6_78:                               ;   in Loop: Header=BB6_57 Depth=2
	s_or_b32 exec_lo, exec_lo, s13
	v_and_b32_e32 v2, 0x2000, v30
	s_delay_alu instid0(VALU_DEP_2)
	v_lshl_add_u64 v[16:17], v[16:17], 3, v[32:33]
	s_mov_b32 s13, exec_lo
	ds_store_b64 v0, v[16:17] offset:784
	v_cmpx_ne_u32_e32 0, v2
	s_cbranch_execz .LBB6_80
; %bb.79:                               ;   in Loop: Header=BB6_57 Depth=2
	ds_load_b64 v[16:17], v0 offset:872
	s_wait_dscnt 0x0
	v_add_nc_u64_e32 v[16:17], 1, v[16:17]
	ds_store_b64 v0, v[16:17] offset:872
.LBB6_80:                               ;   in Loop: Header=BB6_57 Depth=2
	s_or_b32 exec_lo, exec_lo, s13
	v_mov_b64_e32 v[112:113], v[14:15]
.LBB6_81:                               ;   in Loop: Header=BB6_57 Depth=2
	s_or_b32 exec_lo, exec_lo, s20
	s_and_saveexec_b32 s13, s2
	s_cbranch_execz .LBB6_102
; %bb.82:                               ;   in Loop: Header=BB6_57 Depth=2
	s_and_saveexec_b32 s20, s3
	s_delay_alu instid0(SALU_CYCLE_1)
	s_xor_b32 s20, exec_lo, s20
	s_cbranch_execz .LBB6_99
; %bb.83:                               ;   in Loop: Header=BB6_57 Depth=2
	s_and_saveexec_b32 s41, s6
	s_cbranch_execz .LBB6_98
; %bb.84:                               ;   in Loop: Header=BB6_57 Depth=2
	s_mov_b32 s45, exec_lo
	s_mov_b32 s44, exec_lo
	v_mbcnt_lo_u32_b32 v2, s45, 0
	global_wb scope:SCOPE_DEV
	s_wait_storecnt 0x0
	s_wait_loadcnt_dscnt 0x0
	global_inv scope:SCOPE_DEV
	v_cmpx_eq_u32_e32 0, v2
	s_cbranch_execz .LBB6_86
; %bb.85:                               ;   in Loop: Header=BB6_57 Depth=2
	s_bcnt1_i32_b32 s45, s45
	s_delay_alu instid0(SALU_CYCLE_1)
	v_mov_b32_e32 v2, s45
	s_wait_loadcnt 0x0
	ds_add_u64 v2, v[2:3]
	s_trap 2
.LBB6_86:                               ;   in Loop: Header=BB6_57 Depth=2
	s_or_b32 exec_lo, exec_lo, s44
	s_trap 2
	ds_load_b64 v[14:15], v2
	s_wait_dscnt 0x0
	v_add_nc_u64_e32 v[36:37], v[36:37], v[48:49]
	s_mov_b32 s44, exec_lo
	s_delay_alu instid0(VALU_DEP_1)
	v_cmpx_lt_u64_e64 v[14:15], v[36:37]
	s_cbranch_execz .LBB6_97
; %bb.87:                               ;   in Loop: Header=BB6_57 Depth=2
	s_mov_b32 s45, 0
	s_mov_b32 s74, 0
                                        ; implicit-def: $sgpr72
                                        ; implicit-def: $sgpr73
	s_branch .LBB6_89
.LBB6_88:                               ;   in Loop: Header=BB6_89 Depth=3
	s_or_b32 exec_lo, exec_lo, s76
	s_delay_alu instid0(SALU_CYCLE_1) | instskip(NEXT) | instid1(SALU_CYCLE_1)
	s_and_b32 s75, exec_lo, s77
	s_or_b32 s45, s75, s45
	s_and_not1_b32 s72, s72, exec_lo
	s_and_b32 s75, s73, exec_lo
	s_delay_alu instid0(SALU_CYCLE_1)
	s_or_b32 s72, s72, s75
	s_and_not1_b32 exec_lo, exec_lo, s45
	s_cbranch_execz .LBB6_95
.LBB6_89:                               ;   Parent Loop BB6_47 Depth=1
                                        ;     Parent Loop BB6_57 Depth=2
                                        ; =>    This Inner Loop Header: Depth=3
	s_add_co_i32 s74, s74, 1
	s_delay_alu instid0(SALU_CYCLE_1) | instskip(SKIP_1) | instid1(SALU_CYCLE_1)
	s_cmp_lg_u32 s74, 0x2710
	s_cselect_b32 s75, -1, 0
	s_and_b32 vcc_lo, exec_lo, s75
	s_cbranch_vccz .LBB6_91
; %bb.90:                               ;   in Loop: Header=BB6_89 Depth=3
	s_mov_b32 s77, -1
	s_or_b32 s73, s73, exec_lo
	s_and_saveexec_b32 s76, s75
	s_cbranch_execz .LBB6_88
	s_branch .LBB6_92
.LBB6_91:                               ;   in Loop: Header=BB6_89 Depth=3
	s_trap 2
	ds_load_b64 v[14:15], v2
	s_and_not1_b32 s75, s75, exec_lo
	s_mov_b32 s74, 0
	s_wait_loadcnt_dscnt 0x0
	flat_load_b32 v2, v[14:15] scope:SCOPE_SYS
	s_wait_loadcnt_dscnt 0x0
	global_inv scope:SCOPE_SYS
	v_cmp_eq_u32_e32 vcc_lo, 0, v2
	s_and_b32 s76, vcc_lo, exec_lo
	s_delay_alu instid0(SALU_CYCLE_1)
	s_or_b32 s75, s75, s76
	s_mov_b32 s77, -1
	s_or_b32 s73, s73, exec_lo
	s_and_saveexec_b32 s76, s75
	s_cbranch_execz .LBB6_88
.LBB6_92:                               ;   in Loop: Header=BB6_89 Depth=3
	s_sleep 1
	s_trap 2
	ds_load_b64 v[14:15], v2
	s_wait_dscnt 0x0
	s_and_not1_b32 s73, s73, exec_lo
	v_cmp_ge_u64_e32 vcc_lo, v[14:15], v[36:37]
	s_or_not1_b32 s77, vcc_lo, exec_lo
	s_branch .LBB6_88
.LBB6_93:                               ;   in Loop: Header=BB6_57 Depth=2
	s_and_not1_saveexec_b32 s13, s13
	s_cbranch_execz .LBB6_76
.LBB6_94:                               ;   in Loop: Header=BB6_57 Depth=2
	v_and_b32_e32 v2, 7, v112
	s_or_b32 s41, s41, exec_lo
	s_or_b32 exec_lo, exec_lo, s13
	s_and_saveexec_b32 s13, s41
	s_cbranch_execnz .LBB6_77
	s_branch .LBB6_78
.LBB6_95:                               ;   in Loop: Header=BB6_57 Depth=2
	s_or_b32 exec_lo, exec_lo, s45
	s_and_saveexec_b32 s45, s72
	s_delay_alu instid0(SALU_CYCLE_1)
	s_xor_b32 s45, exec_lo, s45
	s_cbranch_execz .LBB6_97
; %bb.96:                               ;   in Loop: Header=BB6_57 Depth=2
	ds_store_b32 v2, v121
	s_trap 2
.LBB6_97:                               ;   in Loop: Header=BB6_57 Depth=2
	s_or_b32 exec_lo, exec_lo, s44
	;;#ASMSTART
	s_wakeup
	;;#ASMEND
.LBB6_98:                               ;   in Loop: Header=BB6_57 Depth=2
	s_or_b32 exec_lo, exec_lo, s41
.LBB6_99:                               ;   in Loop: Header=BB6_57 Depth=2
	s_and_not1_saveexec_b32 s20, s20
	s_cbranch_execz .LBB6_101
; %bb.100:                              ;   in Loop: Header=BB6_57 Depth=2
	global_wb scope:SCOPE_DEV
	s_wait_storecnt 0x0
	s_wait_loadcnt_dscnt 0x0
	global_inv scope:SCOPE_DEV
	s_barrier_signal -1
	s_barrier_wait -1
.LBB6_101:                              ;   in Loop: Header=BB6_57 Depth=2
	s_or_b32 exec_lo, exec_lo, s20
.LBB6_102:                              ;   in Loop: Header=BB6_57 Depth=2
	s_delay_alu instid0(SALU_CYCLE_1) | instskip(SKIP_4) | instid1(VALU_DEP_1)
	s_or_b32 exec_lo, exec_lo, s13
	s_trap 2
	ds_load_b32 v9, v2
	v_and_b32_e32 v2, 0x4000, v30
	s_xor_b32 s13, s1, -1
	v_cmp_ne_u32_e32 vcc_lo, 0, v2
	s_and_b32 s20, s13, vcc_lo
	s_delay_alu instid0(SALU_CYCLE_1)
	s_and_saveexec_b32 s13, s20
	s_cbranch_execz .LBB6_121
; %bb.103:                              ;   in Loop: Header=BB6_57 Depth=2
	s_and_saveexec_b32 s20, s3
	s_delay_alu instid0(SALU_CYCLE_1)
	s_xor_b32 s20, exec_lo, s20
	s_cbranch_execz .LBB6_118
; %bb.104:                              ;   in Loop: Header=BB6_57 Depth=2
	s_and_saveexec_b32 s41, s6
	s_cbranch_execz .LBB6_117
; %bb.105:                              ;   in Loop: Header=BB6_57 Depth=2
	s_mov_b32 s45, exec_lo
	s_mov_b32 s44, exec_lo
	v_mbcnt_lo_u32_b32 v2, s45, 0
	global_wb scope:SCOPE_DEV
	s_wait_storecnt 0x0
	s_wait_loadcnt_dscnt 0x0
	global_inv scope:SCOPE_DEV
	v_cmpx_eq_u32_e32 0, v2
	s_cbranch_execz .LBB6_107
; %bb.106:                              ;   in Loop: Header=BB6_57 Depth=2
	s_bcnt1_i32_b32 s45, s45
	s_delay_alu instid0(SALU_CYCLE_1)
	v_mov_b32_e32 v2, s45
	s_wait_loadcnt 0x0
	ds_add_u64 v2, v[2:3]
	s_trap 2
.LBB6_107:                              ;   in Loop: Header=BB6_57 Depth=2
	s_or_b32 exec_lo, exec_lo, s44
	s_trap 2
	ds_load_b64 v[14:15], v2
	s_wait_dscnt 0x0
	v_add_nc_u64_e32 v[36:37], v[36:37], v[48:49]
	s_mov_b32 s44, exec_lo
	s_delay_alu instid0(VALU_DEP_1)
	v_cmpx_lt_u64_e64 v[14:15], v[36:37]
	s_cbranch_execz .LBB6_116
; %bb.108:                              ;   in Loop: Header=BB6_57 Depth=2
	s_mov_b32 s45, 0
	s_mov_b32 s74, 0
                                        ; implicit-def: $sgpr72
                                        ; implicit-def: $sgpr73
	s_branch .LBB6_110
.LBB6_109:                              ;   in Loop: Header=BB6_110 Depth=3
	s_or_b32 exec_lo, exec_lo, s76
	s_delay_alu instid0(SALU_CYCLE_1) | instskip(NEXT) | instid1(SALU_CYCLE_1)
	s_and_b32 s75, exec_lo, s77
	s_or_b32 s45, s75, s45
	s_and_not1_b32 s72, s72, exec_lo
	s_and_b32 s75, s73, exec_lo
	s_delay_alu instid0(SALU_CYCLE_1)
	s_or_b32 s72, s72, s75
	s_and_not1_b32 exec_lo, exec_lo, s45
	s_cbranch_execz .LBB6_114
.LBB6_110:                              ;   Parent Loop BB6_47 Depth=1
                                        ;     Parent Loop BB6_57 Depth=2
                                        ; =>    This Inner Loop Header: Depth=3
	s_add_co_i32 s74, s74, 1
	s_delay_alu instid0(SALU_CYCLE_1) | instskip(SKIP_1) | instid1(SALU_CYCLE_1)
	s_cmp_lg_u32 s74, 0x2710
	s_cselect_b32 s75, -1, 0
	s_and_b32 vcc_lo, exec_lo, s75
	s_cbranch_vccz .LBB6_112
; %bb.111:                              ;   in Loop: Header=BB6_110 Depth=3
	s_mov_b32 s77, -1
	s_or_b32 s73, s73, exec_lo
	s_and_saveexec_b32 s76, s75
	s_cbranch_execz .LBB6_109
	s_branch .LBB6_113
.LBB6_112:                              ;   in Loop: Header=BB6_110 Depth=3
	s_trap 2
	ds_load_b64 v[14:15], v2
	s_and_not1_b32 s75, s75, exec_lo
	s_mov_b32 s74, 0
	s_wait_loadcnt_dscnt 0x0
	flat_load_b32 v2, v[14:15] scope:SCOPE_SYS
	s_wait_loadcnt_dscnt 0x0
	global_inv scope:SCOPE_SYS
	v_cmp_eq_u32_e32 vcc_lo, 0, v2
	s_and_b32 s76, vcc_lo, exec_lo
	s_delay_alu instid0(SALU_CYCLE_1)
	s_or_b32 s75, s75, s76
	s_mov_b32 s77, -1
	s_or_b32 s73, s73, exec_lo
	s_and_saveexec_b32 s76, s75
	s_cbranch_execz .LBB6_109
.LBB6_113:                              ;   in Loop: Header=BB6_110 Depth=3
	s_sleep 1
	s_trap 2
	ds_load_b64 v[14:15], v2
	s_wait_dscnt 0x0
	s_and_not1_b32 s73, s73, exec_lo
	v_cmp_ge_u64_e32 vcc_lo, v[14:15], v[36:37]
	s_or_not1_b32 s77, vcc_lo, exec_lo
	s_branch .LBB6_109
.LBB6_114:                              ;   in Loop: Header=BB6_57 Depth=2
	s_or_b32 exec_lo, exec_lo, s45
	s_and_saveexec_b32 s45, s72
	s_delay_alu instid0(SALU_CYCLE_1)
	s_xor_b32 s45, exec_lo, s45
	s_cbranch_execz .LBB6_116
; %bb.115:                              ;   in Loop: Header=BB6_57 Depth=2
	ds_store_b32 v2, v121
	s_trap 2
.LBB6_116:                              ;   in Loop: Header=BB6_57 Depth=2
	s_or_b32 exec_lo, exec_lo, s44
	;;#ASMSTART
	s_wakeup
	;;#ASMEND
.LBB6_117:                              ;   in Loop: Header=BB6_57 Depth=2
	s_or_b32 exec_lo, exec_lo, s41
.LBB6_118:                              ;   in Loop: Header=BB6_57 Depth=2
	s_and_not1_saveexec_b32 s20, s20
	s_cbranch_execz .LBB6_120
; %bb.119:                              ;   in Loop: Header=BB6_57 Depth=2
	global_wb scope:SCOPE_DEV
	s_wait_storecnt 0x0
	s_wait_loadcnt_dscnt 0x0
	global_inv scope:SCOPE_DEV
	s_barrier_signal -1
	s_barrier_wait -1
.LBB6_120:                              ;   in Loop: Header=BB6_57 Depth=2
	s_or_b32 exec_lo, exec_lo, s20
.LBB6_121:                              ;   in Loop: Header=BB6_57 Depth=2
	s_delay_alu instid0(SALU_CYCLE_1)
	s_or_b32 exec_lo, exec_lo, s13
	s_trap 2
	ds_load_b64 v[14:15], v2
	s_wait_dscnt 0x0
	v_cmp_eq_u64_e32 vcc_lo, 0, v[14:15]
	s_cbranch_vccnz .LBB6_129
; %bb.122:                              ;   in Loop: Header=BB6_57 Depth=2
	s_trap 2
	ds_load_b64 v[16:17], v2
	s_wait_dscnt 0x0
	v_cmp_eq_u64_e32 vcc_lo, 0, v[16:17]
	s_cbranch_vccnz .LBB6_129
; %bb.123:                              ;   in Loop: Header=BB6_57 Depth=2
	s_mov_b32 s13, -1
	s_and_saveexec_b32 s20, s7
	s_cbranch_execz .LBB6_125
; %bb.124:                              ;   in Loop: Header=BB6_57 Depth=2
	ds_load_b32 v2, v0 offset:720
	s_wait_dscnt 0x0
	v_and_b32_e32 v2, 15, v2
	s_delay_alu instid0(VALU_DEP_1)
	v_cmp_eq_u32_e32 vcc_lo, 0, v2
	s_or_not1_b32 s13, vcc_lo, exec_lo
.LBB6_125:                              ;   in Loop: Header=BB6_57 Depth=2
	s_or_b32 exec_lo, exec_lo, s20
	s_and_saveexec_b32 s20, s10
	s_cbranch_execz .LBB6_127
; %bb.126:                              ;   in Loop: Header=BB6_57 Depth=2
	ds_load_b32 v2, v0 offset:784
	s_wait_dscnt 0x0
	v_and_b32_e32 v2, 15, v2
	s_delay_alu instid0(VALU_DEP_1) | instskip(SKIP_3) | instid1(SALU_CYCLE_1)
	v_cmp_eq_u32_e32 vcc_lo, 0, v2
	s_and_b32 s41, s13, vcc_lo
	s_and_not1_b32 s13, s13, exec_lo
	s_and_b32 s41, s41, exec_lo
	s_or_b32 s13, s13, s41
.LBB6_127:                              ;   in Loop: Header=BB6_57 Depth=2
	s_or_b32 exec_lo, exec_lo, s20
	v_cmp_eq_u32_e32 vcc_lo, 0, v9
	s_xor_b32 s13, s13, -1
	s_mov_b32 s41, -1
	v_cndmask_b32_e64 v11, 0, 1, s13
	v_cndmask_b32_e32 v2, 0, v8, vcc_lo
	s_delay_alu instid0(VALU_DEP_2) | instskip(NEXT) | instid1(VALU_DEP_2)
	v_cmp_ne_u32_e32 vcc_lo, 0, v11
	v_dual_mov_b32 v11, 0 :: v_dual_lshlrev_b32 v9, 3, v2
	s_cbranch_vccz .LBB6_134
; %bb.128:                              ;   in Loop: Header=BB6_57 Depth=2
	v_mov_b32_e32 v23, v0
	s_and_saveexec_b32 s13, s41
	s_cbranch_execnz .LBB6_145
	s_branch .LBB6_153
.LBB6_129:                              ;   in Loop: Header=BB6_57 Depth=2
	s_mov_b32 s13, 0
	s_and_saveexec_b32 s20, s2
	s_cbranch_execnz .LBB6_154
.LBB6_130:                              ;   in Loop: Header=BB6_57 Depth=2
	s_or_b32 exec_lo, exec_lo, s20
                                        ; implicit-def: $vgpr2
	s_and_saveexec_b32 s20, s12
	s_delay_alu instid0(SALU_CYCLE_1)
	s_xor_b32 s20, exec_lo, s20
	s_cbranch_execz .LBB6_172
.LBB6_131:                              ;   in Loop: Header=BB6_57 Depth=2
	v_and_b32_e32 v2, 16, v30
	s_delay_alu instid0(VALU_DEP_1) | instskip(SKIP_2) | instid1(SALU_CYCLE_1)
	v_cmp_ne_u32_e32 vcc_lo, 0, v2
	v_and_b32_e32 v2, 16, v30
	s_and_b32 s41, vcc_lo, s13
	s_and_saveexec_b32 s13, s41
	s_cbranch_execz .LBB6_133
; %bb.132:                              ;   in Loop: Header=BB6_57 Depth=2
	v_mov_b32_e32 v2, 1
	global_wb scope:SCOPE_SYS
	s_wait_storecnt 0x0
	s_wait_loadcnt_dscnt 0x0
	global_inv scope:SCOPE_SYS
.LBB6_133:                              ;   in Loop: Header=BB6_57 Depth=2
	s_or_b32 exec_lo, exec_lo, s13
	s_and_not1_saveexec_b32 s13, s20
	s_cbranch_execz .LBB6_191
	s_branch .LBB6_173
.LBB6_134:                              ;   in Loop: Header=BB6_57 Depth=2
	s_delay_alu instid0(VALU_DEP_1) | instskip(SKIP_1) | instid1(VALU_DEP_1)
	v_ashrrev_i32_e32 v11, 31, v9
	s_mov_b32 s13, exec_lo
	v_lshrrev_b32_e32 v11, 20, v11
	s_delay_alu instid0(VALU_DEP_1) | instskip(NEXT) | instid1(VALU_DEP_1)
	v_add_nc_u32_e32 v11, v9, v11
	v_ashrrev_i32_e32 v11, 12, v11
	s_delay_alu instid0(VALU_DEP_1) | instskip(NEXT) | instid1(VALU_DEP_1)
	v_sub_nc_u32_e32 v40, v11, v120
	v_cmpx_lt_i32_e32 0, v40
	s_cbranch_execz .LBB6_138
; %bb.135:                              ;   in Loop: Header=BB6_57 Depth=2
	v_mov_b64_e32 v[18:19], v[16:17]
	v_mov_b64_e32 v[118:119], v[14:15]
	s_mov_b32 s20, 0
.LBB6_136:                              ;   Parent Loop BB6_47 Depth=1
                                        ;     Parent Loop BB6_57 Depth=2
                                        ; =>    This Inner Loop Header: Depth=3
	s_delay_alu instid0(VALU_DEP_1)
	v_add_nc_u64_e32 v[52:53], v[84:85], v[118:119]
	v_sub_nc_u32_e32 v40, v40, v48
	v_add_nc_u64_e32 v[118:119], v[118:119], v[64:65]
	s_clause 0x7
	global_load_b128 v[42:45], v[52:53], off th:TH_LOAD_NT
	global_load_b128 v[56:59], v[52:53], off offset:512 th:TH_LOAD_NT
	global_load_b128 v[60:63], v[52:53], off offset:1024 th:TH_LOAD_NT
	;; [unrolled: 1-line block ×7, first 2 shown]
	s_wait_xcnt 0x0
	v_add_nc_u64_e32 v[52:53], v[84:85], v[18:19]
	v_add_nc_u64_e32 v[18:19], v[18:19], v[64:65]
	v_cmp_gt_i32_e32 vcc_lo, 1, v40
	s_wait_loadcnt 0x7
	global_store_b128 v[52:53], v[42:45], off th:TH_STORE_NT
	s_wait_loadcnt 0x6
	global_store_b128 v[52:53], v[56:59], off offset:512 th:TH_STORE_NT
	s_wait_loadcnt 0x5
	global_store_b128 v[52:53], v[60:63], off offset:1024 th:TH_STORE_NT
	;; [unrolled: 2-line block ×7, first 2 shown]
	s_or_b32 s20, vcc_lo, s20
	s_wait_xcnt 0x0
	s_and_not1_b32 exec_lo, exec_lo, s20
	s_cbranch_execnz .LBB6_136
; %bb.137:                              ;   in Loop: Header=BB6_57 Depth=2
	s_or_b32 exec_lo, exec_lo, s20
.LBB6_138:                              ;   in Loop: Header=BB6_57 Depth=2
	s_delay_alu instid0(SALU_CYCLE_1) | instskip(SKIP_3) | instid1(VALU_DEP_1)
	s_or_b32 exec_lo, exec_lo, s13
	v_dual_mov_b32 v11, 0 :: v_dual_lshlrev_b32 v118, 12, v11
	s_mov_b32 s41, 0
	s_mov_b32 s20, exec_lo
                                        ; implicit-def: $vgpr23
	v_cmpx_ne_u32_e64 v9, v118
	s_cbranch_execz .LBB6_144
; %bb.139:                              ;   in Loop: Header=BB6_57 Depth=2
	v_dual_lshlrev_b32 v11, 5, v40 :: v_dual_sub_nc_u32 v19, v9, v118
	s_mov_b32 s41, exec_lo
	s_delay_alu instid0(VALU_DEP_1) | instskip(NEXT) | instid1(VALU_DEP_2)
	v_sub_nc_u32_e32 v11, v20, v11
	v_ashrrev_i32_e32 v21, 31, v19
	s_delay_alu instid0(VALU_DEP_1) | instskip(NEXT) | instid1(VALU_DEP_1)
	v_dual_ashrrev_i32 v18, 31, v11 :: v_dual_lshrrev_b32 v21, 23, v21
	v_lshrrev_b32_e32 v18, 27, v18
	s_delay_alu instid0(VALU_DEP_1) | instskip(NEXT) | instid1(VALU_DEP_1)
	v_add_nc_u32_e32 v18, v11, v18
	v_dual_add_nc_u32 v21, v19, v21 :: v_dual_ashrrev_i32 v52, 5, v18
	v_and_b32_e32 v23, 0xffffffe0, v18
	s_delay_alu instid0(VALU_DEP_1) | instskip(NEXT) | instid1(VALU_DEP_3)
	v_sub_nc_u32_e32 v23, v11, v23
	v_and_b32_e32 v11, 0xfffffe00, v21
	s_delay_alu instid0(VALU_DEP_1) | instskip(NEXT) | instid1(VALU_DEP_1)
	v_dual_ashrrev_i32 v21, 9, v21 :: v_dual_sub_nc_u32 v119, v19, v11
	v_cmp_lt_i32_e32 vcc_lo, 15, v119
	s_delay_alu instid0(VALU_DEP_2) | instskip(NEXT) | instid1(VALU_DEP_1)
	v_add_co_ci_u32_e64 v21, null, 0, v21, vcc_lo
	v_dual_lshlrev_b32 v18, 4, v23 :: v_dual_sub_nc_u32 v40, v21, v52
	s_delay_alu instid0(VALU_DEP_1) | instskip(NEXT) | instid1(VALU_DEP_1)
	v_lshl_add_u32 v18, v52, 9, v18
	v_sub_nc_u32_e32 v41, v19, v18
	s_delay_alu instid0(VALU_DEP_1)
	v_cmpx_lt_i32_e32 15, v41
	s_cbranch_execz .LBB6_143
; %bb.140:                              ;   in Loop: Header=BB6_57 Depth=2
	v_add_nc_u32_e32 v18, v18, v118
	s_mov_b32 s44, 0
	s_delay_alu instid0(VALU_DEP_1)
	v_ashrrev_i32_e32 v19, 31, v18
.LBB6_141:                              ;   Parent Loop BB6_47 Depth=1
                                        ;     Parent Loop BB6_57 Depth=2
                                        ; =>    This Inner Loop Header: Depth=3
	s_delay_alu instid0(VALU_DEP_1) | instskip(SKIP_1) | instid1(VALU_DEP_1)
	v_add_nc_u64_e32 v[52:53], v[14:15], v[18:19]
	v_dual_sub_nc_u32 v41, v41, v66 :: v_dual_sub_nc_u32 v40, v40, v48
	v_cmp_gt_i32_e64 s13, 16, v41
	global_load_b128 v[42:45], v[52:53], off th:TH_LOAD_NT
	s_wait_xcnt 0x0
	v_add_nc_u64_e32 v[52:53], v[16:17], v[18:19]
	v_add_nc_u64_e32 v[18:19], v[18:19], v[66:67]
	s_or_b32 s44, s13, s44
	s_wait_loadcnt 0x0
	global_store_b128 v[52:53], v[42:45], off th:TH_STORE_NT
	s_wait_xcnt 0x0
	s_and_not1_b32 exec_lo, exec_lo, s44
	s_cbranch_execnz .LBB6_141
; %bb.142:                              ;   in Loop: Header=BB6_57 Depth=2
	s_or_b32 exec_lo, exec_lo, s44
.LBB6_143:                              ;   in Loop: Header=BB6_57 Depth=2
	s_delay_alu instid0(SALU_CYCLE_1) | instskip(SKIP_1) | instid1(VALU_DEP_1)
	s_or_b32 exec_lo, exec_lo, s41
	v_cmp_lt_i32_e64 s13, 0, v40
	v_dual_cndmask_b32 v19, 0, v48, s13 :: v_dual_bitop2_b32 v9, 8, v9 bitop3:0x40
	s_delay_alu instid0(VALU_DEP_1) | instskip(NEXT) | instid1(VALU_DEP_1)
	v_dual_cndmask_b32 v9, v119, v9 :: v_dual_sub_nc_u32 v18, v119, v9
	v_dual_cndmask_b32 v18, 0, v18 :: v_dual_sub_nc_u32 v19, v19, v40
	s_delay_alu instid0(VALU_DEP_2) | instskip(NEXT) | instid1(VALU_DEP_2)
	v_cmp_ne_u32_e32 vcc_lo, 0, v9
	v_lshl_add_u32 v23, v19, 5, v23
	s_delay_alu instid0(VALU_DEP_3)
	v_add3_u32 v11, v11, v118, v18
	s_and_b32 s41, vcc_lo, exec_lo
.LBB6_144:                              ;   in Loop: Header=BB6_57 Depth=2
	s_or_b32 exec_lo, exec_lo, s20
	s_and_saveexec_b32 s13, s41
	s_cbranch_execz .LBB6_153
.LBB6_145:                              ;   in Loop: Header=BB6_57 Depth=2
	s_delay_alu instid0(VALU_DEP_1) | instskip(SKIP_1) | instid1(VALU_DEP_1)
	v_dual_ashrrev_i32 v18, 31, v23 :: v_dual_ashrrev_i32 v19, 31, v9
	s_mov_b32 s20, exec_lo
	v_dual_lshrrev_b32 v18, 27, v18 :: v_dual_lshrrev_b32 v19, 22, v19
	s_delay_alu instid0(VALU_DEP_1) | instskip(NEXT) | instid1(VALU_DEP_1)
	v_dual_add_nc_u32 v18, v23, v18 :: v_dual_add_nc_u32 v19, v9, v19
	v_dual_ashrrev_i32 v42, 5, v18 :: v_dual_ashrrev_i32 v44, 10, v19
	s_delay_alu instid0(VALU_DEP_1) | instskip(NEXT) | instid1(VALU_DEP_1)
	v_sub_nc_u32_e32 v43, v44, v42
	v_cmpx_lt_i32_e32 0, v43
	s_cbranch_execz .LBB6_149
; %bb.146:                              ;   in Loop: Header=BB6_57 Depth=2
	v_and_b32_e32 v18, 0x1fffffe0, v18
	v_lshlrev_b32_e32 v19, 10, v42
	v_mov_b64_e32 v[118:119], v[16:17]
	v_mov_b64_e32 v[40:41], v[14:15]
	s_mov_b32 s41, 0
	v_sub_nc_u32_e32 v18, v23, v18
	s_delay_alu instid0(VALU_DEP_1) | instskip(NEXT) | instid1(VALU_DEP_1)
	v_lshlrev_b32_e32 v18, 3, v18
	v_add3_u32 v18, v18, v11, v19
	s_delay_alu instid0(VALU_DEP_1)
	v_ashrrev_i32_e32 v19, 31, v18
.LBB6_147:                              ;   Parent Loop BB6_47 Depth=1
                                        ;     Parent Loop BB6_57 Depth=2
                                        ; =>    This Inner Loop Header: Depth=3
	s_delay_alu instid0(VALU_DEP_1)
	v_add_nc_u64_e32 v[52:53], v[18:19], v[40:41]
	v_sub_nc_u32_e32 v43, v43, v48
	v_add_nc_u64_e32 v[58:59], v[18:19], v[118:119]
	v_add_nc_u64_e32 v[40:41], v[40:41], v[68:69]
	;; [unrolled: 1-line block ×3, first 2 shown]
	s_clause 0x3
	flat_load_b64 v[54:55], v[52:53] th:TH_LOAD_NT
	flat_load_b64 v[46:47], v[52:53] offset:256 th:TH_LOAD_NT
	flat_load_b64 v[56:57], v[52:53] offset:512 th:TH_LOAD_NT
	;; [unrolled: 1-line block ×3, first 2 shown]
	v_cmp_gt_i32_e32 vcc_lo, 1, v43
	s_wait_loadcnt_dscnt 0x303
	flat_store_b64 v[58:59], v[54:55] th:TH_STORE_NT
	s_wait_loadcnt_dscnt 0x203
	flat_store_b64 v[58:59], v[46:47] offset:256 th:TH_STORE_NT
	s_wait_loadcnt_dscnt 0x103
	flat_store_b64 v[58:59], v[56:57] offset:512 th:TH_STORE_NT
	;; [unrolled: 2-line block ×3, first 2 shown]
	s_or_b32 s41, vcc_lo, s41
	s_wait_xcnt 0x0
	s_and_not1_b32 exec_lo, exec_lo, s41
	s_cbranch_execnz .LBB6_147
; %bb.148:                              ;   in Loop: Header=BB6_57 Depth=2
	s_or_b32 exec_lo, exec_lo, s41
.LBB6_149:                              ;   in Loop: Header=BB6_57 Depth=2
	s_delay_alu instid0(SALU_CYCLE_1) | instskip(SKIP_1) | instid1(VALU_DEP_1)
	s_or_b32 exec_lo, exec_lo, s20
	v_lshlrev_b32_e32 v18, 10, v44
	v_cmp_ne_u32_e32 vcc_lo, v9, v18
	s_and_b32 exec_lo, exec_lo, vcc_lo
	s_cbranch_execz .LBB6_153
; %bb.150:                              ;   in Loop: Header=BB6_57 Depth=2
	v_dual_lshlrev_b32 v19, 5, v42 :: v_dual_lshlrev_b32 v21, 5, v43
	s_delay_alu instid0(VALU_DEP_1) | instskip(NEXT) | instid1(VALU_DEP_1)
	v_sub_nc_u32_e32 v19, v23, v19
	v_sub_nc_u32_e32 v19, v19, v21
	s_delay_alu instid0(VALU_DEP_1) | instskip(NEXT) | instid1(VALU_DEP_1)
	v_ashrrev_i32_e32 v21, 31, v19
	v_lshrrev_b32_e32 v21, 27, v21
	s_delay_alu instid0(VALU_DEP_1) | instskip(NEXT) | instid1(VALU_DEP_1)
	v_add_nc_u32_e32 v21, v19, v21
	v_and_b32_e32 v23, 0x1fffffe0, v21
	s_delay_alu instid0(VALU_DEP_1) | instskip(NEXT) | instid1(VALU_DEP_1)
	v_dual_lshlrev_b32 v21, 3, v21 :: v_dual_sub_nc_u32 v19, v19, v23
	v_and_b32_e32 v21, 0xffffff00, v21
	s_delay_alu instid0(VALU_DEP_2) | instskip(NEXT) | instid1(VALU_DEP_1)
	v_lshlrev_b32_e32 v19, 3, v19
	v_add3_u32 v18, v21, v19, v18
	s_delay_alu instid0(VALU_DEP_1) | instskip(NEXT) | instid1(VALU_DEP_1)
	v_sub_nc_u32_e32 v9, v9, v18
	v_cmp_lt_i32_e32 vcc_lo, 7, v9
	s_and_b32 exec_lo, exec_lo, vcc_lo
	s_cbranch_execz .LBB6_153
; %bb.151:                              ;   in Loop: Header=BB6_57 Depth=2
	v_add_nc_u32_e32 v18, v18, v11
	s_mov_b32 s20, 0
	s_delay_alu instid0(VALU_DEP_1)
	v_ashrrev_i32_e32 v19, 31, v18
.LBB6_152:                              ;   Parent Loop BB6_47 Depth=1
                                        ;     Parent Loop BB6_57 Depth=2
                                        ; =>    This Inner Loop Header: Depth=3
	s_delay_alu instid0(VALU_DEP_1) | instskip(SKIP_3) | instid1(VALU_DEP_3)
	v_add_nc_u64_e32 v[52:53], v[14:15], v[18:19]
	v_sub_nc_u32_e32 v9, v9, v70
	v_add_nc_u64_e32 v[54:55], v[16:17], v[18:19]
	v_add_nc_u64_e32 v[18:19], v[18:19], v[70:71]
	v_cmp_gt_i32_e32 vcc_lo, 8, v9
	flat_load_b64 v[52:53], v[52:53] th:TH_LOAD_NT
	s_or_b32 s20, vcc_lo, s20
	s_wait_loadcnt_dscnt 0x0
	flat_store_b64 v[54:55], v[52:53] th:TH_STORE_NT
	s_wait_xcnt 0x0
	s_and_not1_b32 exec_lo, exec_lo, s20
	s_cbranch_execnz .LBB6_152
.LBB6_153:                              ;   in Loop: Header=BB6_57 Depth=2
	s_or_b32 exec_lo, exec_lo, s13
	v_cmp_lt_i32_e64 s13, 0, v2
	s_and_saveexec_b32 s20, s2
	s_cbranch_execz .LBB6_130
.LBB6_154:                              ;   in Loop: Header=BB6_57 Depth=2
	s_and_saveexec_b32 s41, s3
	s_delay_alu instid0(SALU_CYCLE_1)
	s_xor_b32 s41, exec_lo, s41
	s_cbranch_execz .LBB6_169
; %bb.155:                              ;   in Loop: Header=BB6_57 Depth=2
	s_and_saveexec_b32 s44, s6
	s_cbranch_execz .LBB6_168
; %bb.156:                              ;   in Loop: Header=BB6_57 Depth=2
	s_mov_b32 s72, exec_lo
	s_mov_b32 s45, exec_lo
	v_mbcnt_lo_u32_b32 v2, s72, 0
	global_wb scope:SCOPE_DEV
	s_wait_storecnt 0x0
	s_wait_loadcnt_dscnt 0x0
	global_inv scope:SCOPE_DEV
	v_cmpx_eq_u32_e32 0, v2
	s_cbranch_execz .LBB6_158
; %bb.157:                              ;   in Loop: Header=BB6_57 Depth=2
	s_bcnt1_i32_b32 s72, s72
	s_delay_alu instid0(SALU_CYCLE_1)
	v_mov_b32_e32 v2, s72
	s_wait_loadcnt 0x0
	ds_add_u64 v2, v[2:3]
	s_trap 2
.LBB6_158:                              ;   in Loop: Header=BB6_57 Depth=2
	s_or_b32 exec_lo, exec_lo, s45
	s_trap 2
	ds_load_b64 v[14:15], v2
	s_wait_dscnt 0x0
	v_add_nc_u64_e32 v[36:37], v[36:37], v[48:49]
	s_mov_b32 s45, exec_lo
	s_delay_alu instid0(VALU_DEP_1)
	v_cmpx_lt_u64_e64 v[14:15], v[36:37]
	s_cbranch_execz .LBB6_167
; %bb.159:                              ;   in Loop: Header=BB6_57 Depth=2
	s_mov_b32 s72, 0
	s_mov_b32 s75, 0
                                        ; implicit-def: $sgpr73
                                        ; implicit-def: $sgpr74
	s_branch .LBB6_161
.LBB6_160:                              ;   in Loop: Header=BB6_161 Depth=3
	s_or_b32 exec_lo, exec_lo, s77
	s_delay_alu instid0(SALU_CYCLE_1) | instskip(NEXT) | instid1(SALU_CYCLE_1)
	s_and_b32 s76, exec_lo, s78
	s_or_b32 s72, s76, s72
	s_and_not1_b32 s73, s73, exec_lo
	s_and_b32 s76, s74, exec_lo
	s_delay_alu instid0(SALU_CYCLE_1)
	s_or_b32 s73, s73, s76
	s_and_not1_b32 exec_lo, exec_lo, s72
	s_cbranch_execz .LBB6_165
.LBB6_161:                              ;   Parent Loop BB6_47 Depth=1
                                        ;     Parent Loop BB6_57 Depth=2
                                        ; =>    This Inner Loop Header: Depth=3
	s_add_co_i32 s75, s75, 1
	s_delay_alu instid0(SALU_CYCLE_1) | instskip(SKIP_1) | instid1(SALU_CYCLE_1)
	s_cmp_lg_u32 s75, 0x2710
	s_cselect_b32 s76, -1, 0
	s_and_b32 vcc_lo, exec_lo, s76
	s_cbranch_vccz .LBB6_163
; %bb.162:                              ;   in Loop: Header=BB6_161 Depth=3
	s_mov_b32 s78, -1
	s_or_b32 s74, s74, exec_lo
	s_and_saveexec_b32 s77, s76
	s_cbranch_execz .LBB6_160
	s_branch .LBB6_164
.LBB6_163:                              ;   in Loop: Header=BB6_161 Depth=3
	s_trap 2
	ds_load_b64 v[14:15], v2
	s_and_not1_b32 s76, s76, exec_lo
	s_mov_b32 s75, 0
	s_wait_loadcnt_dscnt 0x0
	flat_load_b32 v2, v[14:15] scope:SCOPE_SYS
	s_wait_loadcnt_dscnt 0x0
	global_inv scope:SCOPE_SYS
	v_cmp_eq_u32_e32 vcc_lo, 0, v2
	s_and_b32 s77, vcc_lo, exec_lo
	s_delay_alu instid0(SALU_CYCLE_1)
	s_or_b32 s76, s76, s77
	s_mov_b32 s78, -1
	s_or_b32 s74, s74, exec_lo
	s_and_saveexec_b32 s77, s76
	s_cbranch_execz .LBB6_160
.LBB6_164:                              ;   in Loop: Header=BB6_161 Depth=3
	s_sleep 1
	s_trap 2
	ds_load_b64 v[14:15], v2
	s_wait_dscnt 0x0
	s_and_not1_b32 s74, s74, exec_lo
	v_cmp_ge_u64_e32 vcc_lo, v[14:15], v[36:37]
	s_or_not1_b32 s78, vcc_lo, exec_lo
	s_branch .LBB6_160
.LBB6_165:                              ;   in Loop: Header=BB6_57 Depth=2
	s_or_b32 exec_lo, exec_lo, s72
	s_and_saveexec_b32 s72, s73
	s_delay_alu instid0(SALU_CYCLE_1)
	s_xor_b32 s72, exec_lo, s72
	s_cbranch_execz .LBB6_167
; %bb.166:                              ;   in Loop: Header=BB6_57 Depth=2
	ds_store_b32 v2, v121
	s_trap 2
.LBB6_167:                              ;   in Loop: Header=BB6_57 Depth=2
	s_or_b32 exec_lo, exec_lo, s45
	;;#ASMSTART
	s_wakeup
	;;#ASMEND
.LBB6_168:                              ;   in Loop: Header=BB6_57 Depth=2
	s_or_b32 exec_lo, exec_lo, s44
.LBB6_169:                              ;   in Loop: Header=BB6_57 Depth=2
	s_and_not1_saveexec_b32 s41, s41
	s_cbranch_execz .LBB6_171
; %bb.170:                              ;   in Loop: Header=BB6_57 Depth=2
	global_wb scope:SCOPE_DEV
	s_wait_storecnt 0x0
	s_wait_loadcnt_dscnt 0x0
	global_inv scope:SCOPE_DEV
	s_barrier_signal -1
	s_barrier_wait -1
.LBB6_171:                              ;   in Loop: Header=BB6_57 Depth=2
	s_or_b32 exec_lo, exec_lo, s41
	s_delay_alu instid0(SALU_CYCLE_1) | instskip(SKIP_1) | instid1(SALU_CYCLE_1)
	s_or_b32 exec_lo, exec_lo, s20
                                        ; implicit-def: $vgpr2
	s_and_saveexec_b32 s20, s12
	s_xor_b32 s20, exec_lo, s20
	s_cbranch_execnz .LBB6_131
.LBB6_172:                              ;   in Loop: Header=BB6_57 Depth=2
	s_and_not1_saveexec_b32 s13, s20
	s_cbranch_execz .LBB6_191
.LBB6_173:                              ;   in Loop: Header=BB6_57 Depth=2
	s_and_saveexec_b32 s20, s3
	s_delay_alu instid0(SALU_CYCLE_1)
	s_xor_b32 s20, exec_lo, s20
	s_cbranch_execz .LBB6_188
; %bb.174:                              ;   in Loop: Header=BB6_57 Depth=2
	s_and_saveexec_b32 s41, s6
	s_cbranch_execz .LBB6_187
; %bb.175:                              ;   in Loop: Header=BB6_57 Depth=2
	s_mov_b32 s45, exec_lo
	s_mov_b32 s44, exec_lo
	v_mbcnt_lo_u32_b32 v2, s45, 0
	;;#ASMSTART
	s_waitcnt lgkmcnt(0) vmcnt(0)
	;;#ASMEND
	s_delay_alu instid0(VALU_DEP_1)
	v_cmpx_eq_u32_e32 0, v2
	s_cbranch_execz .LBB6_177
; %bb.176:                              ;   in Loop: Header=BB6_57 Depth=2
	s_bcnt1_i32_b32 s45, s45
	s_delay_alu instid0(SALU_CYCLE_1)
	v_mov_b32_e32 v2, s45
	s_wait_storecnt 0x0
	s_wait_loadcnt_dscnt 0x0
	ds_add_u64 v2, v[2:3]
	s_trap 2
.LBB6_177:                              ;   in Loop: Header=BB6_57 Depth=2
	s_or_b32 exec_lo, exec_lo, s44
	s_trap 2
	ds_load_b64 v[14:15], v2
	s_wait_dscnt 0x0
	v_add_nc_u64_e32 v[36:37], v[36:37], v[48:49]
	s_mov_b32 s44, exec_lo
	s_delay_alu instid0(VALU_DEP_1)
	v_cmpx_lt_u64_e64 v[14:15], v[36:37]
	s_cbranch_execz .LBB6_186
; %bb.178:                              ;   in Loop: Header=BB6_57 Depth=2
	s_mov_b32 s45, 0
	s_mov_b32 s74, 0
                                        ; implicit-def: $sgpr72
                                        ; implicit-def: $sgpr73
	s_branch .LBB6_180
.LBB6_179:                              ;   in Loop: Header=BB6_180 Depth=3
	s_or_b32 exec_lo, exec_lo, s76
	s_delay_alu instid0(SALU_CYCLE_1) | instskip(NEXT) | instid1(SALU_CYCLE_1)
	s_and_b32 s75, exec_lo, s77
	s_or_b32 s45, s75, s45
	s_and_not1_b32 s72, s72, exec_lo
	s_and_b32 s75, s73, exec_lo
	s_delay_alu instid0(SALU_CYCLE_1)
	s_or_b32 s72, s72, s75
	s_and_not1_b32 exec_lo, exec_lo, s45
	s_cbranch_execz .LBB6_184
.LBB6_180:                              ;   Parent Loop BB6_47 Depth=1
                                        ;     Parent Loop BB6_57 Depth=2
                                        ; =>    This Inner Loop Header: Depth=3
	s_add_co_i32 s74, s74, 1
	s_delay_alu instid0(SALU_CYCLE_1) | instskip(SKIP_1) | instid1(SALU_CYCLE_1)
	s_cmp_lg_u32 s74, 0x2710
	s_cselect_b32 s75, -1, 0
	s_and_b32 vcc_lo, exec_lo, s75
	s_cbranch_vccz .LBB6_182
; %bb.181:                              ;   in Loop: Header=BB6_180 Depth=3
	s_mov_b32 s77, -1
	s_or_b32 s73, s73, exec_lo
	s_and_saveexec_b32 s76, s75
	s_cbranch_execz .LBB6_179
	s_branch .LBB6_183
.LBB6_182:                              ;   in Loop: Header=BB6_180 Depth=3
	s_trap 2
	ds_load_b64 v[14:15], v2
	s_and_not1_b32 s75, s75, exec_lo
	s_mov_b32 s74, 0
	s_wait_storecnt 0x0
	s_wait_loadcnt_dscnt 0x0
	flat_load_b32 v2, v[14:15] scope:SCOPE_SYS
	s_wait_loadcnt_dscnt 0x0
	global_inv scope:SCOPE_SYS
	v_cmp_eq_u32_e32 vcc_lo, 0, v2
	s_and_b32 s76, vcc_lo, exec_lo
	s_delay_alu instid0(SALU_CYCLE_1)
	s_or_b32 s75, s75, s76
	s_mov_b32 s77, -1
	s_or_b32 s73, s73, exec_lo
	s_and_saveexec_b32 s76, s75
	s_cbranch_execz .LBB6_179
.LBB6_183:                              ;   in Loop: Header=BB6_180 Depth=3
	s_sleep 1
	s_trap 2
	ds_load_b64 v[14:15], v2
	s_wait_dscnt 0x0
	s_and_not1_b32 s73, s73, exec_lo
	v_cmp_ge_u64_e32 vcc_lo, v[14:15], v[36:37]
	s_or_not1_b32 s77, vcc_lo, exec_lo
	s_branch .LBB6_179
.LBB6_184:                              ;   in Loop: Header=BB6_57 Depth=2
	s_or_b32 exec_lo, exec_lo, s45
	s_and_saveexec_b32 s45, s72
	s_delay_alu instid0(SALU_CYCLE_1)
	s_xor_b32 s45, exec_lo, s45
	s_cbranch_execz .LBB6_186
; %bb.185:                              ;   in Loop: Header=BB6_57 Depth=2
	ds_store_b32 v2, v121
	s_trap 2
.LBB6_186:                              ;   in Loop: Header=BB6_57 Depth=2
	s_or_b32 exec_lo, exec_lo, s44
	;;#ASMSTART
	s_wakeup
	;;#ASMEND
.LBB6_187:                              ;   in Loop: Header=BB6_57 Depth=2
	s_or_b32 exec_lo, exec_lo, s41
.LBB6_188:                              ;   in Loop: Header=BB6_57 Depth=2
	s_and_not1_saveexec_b32 s20, s20
	s_cbranch_execz .LBB6_190
; %bb.189:                              ;   in Loop: Header=BB6_57 Depth=2
	;;#ASMSTART
	s_waitcnt lgkmcnt(0) vmcnt(0)
	;;#ASMEND
	s_barrier_signal -1
	s_barrier_wait -1
.LBB6_190:                              ;   in Loop: Header=BB6_57 Depth=2
	s_or_b32 exec_lo, exec_lo, s20
	v_and_b32_e32 v2, 16, v30
.LBB6_191:                              ;   in Loop: Header=BB6_57 Depth=2
	s_or_b32 exec_lo, exec_lo, s13
	s_delay_alu instid0(SALU_CYCLE_1) | instskip(NEXT) | instid1(VALU_DEP_1)
	s_mov_b32 s13, exec_lo
	v_cmpx_ne_u32_e32 0, v2
	s_cbranch_execz .LBB6_56
; %bb.192:                              ;   in Loop: Header=BB6_57 Depth=2
	s_and_saveexec_b32 s20, s5
	s_cbranch_execz .LBB6_55
; %bb.193:                              ;   in Loop: Header=BB6_57 Depth=2
	global_wb scope:SCOPE_SYS
	s_wait_storecnt 0x0
	s_wait_loadcnt_dscnt 0x0
	flat_store_b32 v[34:35], v121 scope:SCOPE_SYS
	s_branch .LBB6_55
.LBB6_194:                              ;   in Loop: Header=BB6_47 Depth=1
	s_or_b32 exec_lo, exec_lo, s15
.LBB6_195:                              ;   in Loop: Header=BB6_47 Depth=1
	s_delay_alu instid0(SALU_CYCLE_1) | instskip(NEXT) | instid1(SALU_CYCLE_1)
	s_or_b32 exec_lo, exec_lo, s14
	s_mov_b32 s14, exec_lo
	v_cmpx_gt_i32_e32 2, v2
	s_cbranch_execz .LBB6_269
; %bb.196:                              ;   in Loop: Header=BB6_47 Depth=1
	v_cmp_eq_u32_e64 s16, 0, v2
	s_mov_b32 s15, 0
	s_branch .LBB6_199
.LBB6_197:                              ;   in Loop: Header=BB6_199 Depth=2
	s_wait_xcnt 0x0
	s_or_b32 exec_lo, exec_lo, s16
	v_add_nc_u64_e32 v[112:113], 2, v[112:113]
	global_wb scope:SCOPE_SYS
	s_wait_storecnt 0x0
	s_wait_loadcnt_dscnt 0x0
	flat_store_b64 v[26:27], v[112:113] scope:SCOPE_SYS
.LBB6_198:                              ;   in Loop: Header=BB6_199 Depth=2
	s_wait_xcnt 0x0
	s_or_b32 exec_lo, exec_lo, s13
	v_add_nc_u32_e32 v10, v8, v10
	s_mov_b32 s16, 0
	s_and_not1_b32 exec_lo, exec_lo, s15
	s_cbranch_execz .LBB6_268
.LBB6_199:                              ;   Parent Loop BB6_47 Depth=1
                                        ; =>  This Loop Header: Depth=2
                                        ;       Child Loop BB6_205 Depth 3
                                        ;       Child Loop BB6_229 Depth 3
	;; [unrolled: 1-line block ×3, first 2 shown]
	s_delay_alu instid0(VALU_DEP_1) | instskip(SKIP_2) | instid1(VALU_DEP_2)
	v_sub_nc_u32_e32 v2, v22, v10
	v_and_b32_e32 v9, 8, v30
	s_mov_b32 s17, exec_lo
	v_min_i32_e32 v8, v8, v2
	s_delay_alu instid0(VALU_DEP_2)
	v_cmpx_ne_u32_e32 0, v9
	s_cbranch_execz .LBB6_221
; %bb.200:                              ;   in Loop: Header=BB6_199 Depth=2
	s_wait_loadcnt_dscnt 0x1
	v_add_nc_u64_e32 v[14:15], 8, v[38:39]
	v_add_nc_u64_e32 v[12:13], 2, v[112:113]
	s_mov_b32 s20, exec_lo
	s_delay_alu instid0(VALU_DEP_1)
	v_cmpx_lt_u64_e64 v[14:15], v[12:13]
	s_cbranch_execz .LBB6_212
; %bb.201:                              ;   in Loop: Header=BB6_199 Depth=2
	v_and_b32_e32 v2, 64, v30
	s_mov_b32 s41, 0
	s_mov_b32 s73, 0
                                        ; implicit-def: $sgpr44
                                        ; implicit-def: $sgpr45
                                        ; implicit-def: $sgpr72
	s_delay_alu instid0(VALU_DEP_1)
	v_cmp_eq_u32_e32 vcc_lo, 0, v2
	s_branch .LBB6_205
.LBB6_202:                              ;   in Loop: Header=BB6_205 Depth=3
	s_wait_loadcnt_dscnt 0x0
	v_add_nc_u64_e32 v[14:15], 8, v[38:39]
	s_or_b32 s76, s76, exec_lo
	s_delay_alu instid0(VALU_DEP_1)
	v_cmp_ge_u64_e64 s13, v[14:15], v[12:13]
	s_or_not1_b32 s75, s13, exec_lo
.LBB6_203:                              ;   in Loop: Header=BB6_205 Depth=3
	s_or_b32 exec_lo, exec_lo, s78
	s_delay_alu instid0(SALU_CYCLE_1)
	s_and_not1_b32 s13, s72, exec_lo
	s_and_b32 s72, s76, exec_lo
	s_and_not1_b32 s45, s45, exec_lo
	s_and_b32 s75, s75, exec_lo
	s_or_b32 s72, s13, s72
	s_or_b32 s45, s45, s75
.LBB6_204:                              ;   in Loop: Header=BB6_205 Depth=3
	s_or_b32 exec_lo, exec_lo, s74
	s_delay_alu instid0(SALU_CYCLE_1) | instskip(NEXT) | instid1(SALU_CYCLE_1)
	s_and_b32 s13, exec_lo, s45
	s_or_b32 s41, s13, s41
	s_and_not1_b32 s13, s44, exec_lo
	s_and_b32 s44, s72, exec_lo
	s_delay_alu instid0(SALU_CYCLE_1)
	s_or_b32 s44, s13, s44
	s_and_not1_b32 exec_lo, exec_lo, s41
	s_cbranch_execz .LBB6_209
.LBB6_205:                              ;   Parent Loop BB6_47 Depth=1
                                        ;     Parent Loop BB6_199 Depth=2
                                        ; =>    This Inner Loop Header: Depth=3
	s_sleep 1
	s_wait_loadcnt_dscnt 0x0
	flat_load_b64 v[38:39], v[26:27] scope:SCOPE_SYS
	s_or_b32 s72, s72, exec_lo
	s_or_b32 s45, s45, exec_lo
                                        ; implicit-def: $vgpr2
	s_wait_xcnt 0x0
	s_and_saveexec_b32 s74, vcc_lo
	s_cbranch_execz .LBB6_204
; %bb.206:                              ;   in Loop: Header=BB6_205 Depth=3
	s_cmp_lt_i32 s73, 0x270f
	s_mov_b32 s75, -1
	s_cselect_b32 s77, -1, 0
	s_cmp_gt_i32 s73, 0x270e
	s_cbranch_scc0 .LBB6_208
; %bb.207:                              ;   in Loop: Header=BB6_205 Depth=3
	s_trap 2
	ds_load_b64 v[14:15], v9
	s_and_not1_b32 s73, s77, exec_lo
	s_mov_b32 s76, 0
	s_wait_storecnt 0x0
	s_wait_loadcnt_dscnt 0x0
	flat_load_b32 v2, v[14:15] scope:SCOPE_SYS
	s_wait_loadcnt_dscnt 0x0
	global_inv scope:SCOPE_SYS
	v_cmp_eq_u32_e64 s13, 0, v2
	s_and_b32 s13, s13, exec_lo
	s_delay_alu instid0(SALU_CYCLE_1)
	s_or_b32 s77, s73, s13
	s_mov_b32 s73, 0
	s_and_saveexec_b32 s78, s77
	s_cbranch_execz .LBB6_203
	s_branch .LBB6_202
.LBB6_208:                              ;   in Loop: Header=BB6_205 Depth=3
	s_add_co_i32 s73, s73, 1
	s_mov_b32 s76, -1
                                        ; implicit-def: $vgpr2
	s_and_saveexec_b32 s78, s77
	s_cbranch_execz .LBB6_203
	s_branch .LBB6_202
.LBB6_209:                              ;   in Loop: Header=BB6_199 Depth=2
	s_or_b32 exec_lo, exec_lo, s41
	s_xor_b32 s13, s44, -1
	s_delay_alu instid0(SALU_CYCLE_1) | instskip(NEXT) | instid1(SALU_CYCLE_1)
	s_and_saveexec_b32 s41, s13
	s_xor_b32 s13, exec_lo, s41
	s_cbranch_execz .LBB6_211
; %bb.210:                              ;   in Loop: Header=BB6_199 Depth=2
	v_or_b32_e32 v30, 64, v30
	s_wait_storecnt 0x0
	s_wait_loadcnt_dscnt 0x0
	ds_store_b32 v9, v2
	s_trap 2
.LBB6_211:                              ;   in Loop: Header=BB6_199 Depth=2
	s_or_b32 exec_lo, exec_lo, s13
.LBB6_212:                              ;   in Loop: Header=BB6_199 Depth=2
	s_delay_alu instid0(SALU_CYCLE_1) | instskip(SKIP_4) | instid1(VALU_DEP_1)
	s_or_b32 exec_lo, exec_lo, s20
	v_and_b32_e32 v2, 0x100, v30
	s_mov_b32 s20, 0
	s_mov_b32 s13, exec_lo
	;;#ASMSTART
	s_wakeup
	;;#ASMEND
                                        ; implicit-def: $vgpr14_vgpr15
	v_cmpx_ne_u32_e32 0, v2
	s_xor_b32 s13, exec_lo, s13
	s_cbranch_execz .LBB6_233
; %bb.213:                              ;   in Loop: Header=BB6_199 Depth=2
	v_and_b32_e32 v2, 7, v112
	v_ashrrev_i32_e32 v9, 31, v8
	s_mov_b32 s20, -1
	s_mov_b32 s41, exec_lo
	s_delay_alu instid0(VALU_DEP_2) | instskip(NEXT) | instid1(VALU_DEP_2)
	v_mad_nc_u64_u32 v[16:17], v2, 24, v[6:7]
	v_lshlrev_b64_e32 v[14:15], 3, v[8:9]
	s_clause 0x1
	flat_load_b32 v11, v[16:17]
	flat_store_b64 v[16:17], v[14:15] offset:8
                                        ; implicit-def: $vgpr14_vgpr15
	s_wait_loadcnt_dscnt 0x1
	v_cmpx_eq_u32_e32 1, v11
	s_cbranch_execz .LBB6_215
; %bb.214:                              ;   in Loop: Header=BB6_199 Depth=2
	flat_load_b32 v14, v[16:17] offset:4 scope:SCOPE_SYS
	s_xor_b32 s20, exec_lo, -1
	s_wait_loadcnt_dscnt 0x0
	v_ashrrev_i32_e32 v15, 31, v14
	s_delay_alu instid0(VALU_DEP_1)
	v_lshrrev_b64 v[14:15], 3, v[14:15]
.LBB6_215:                              ;   in Loop: Header=BB6_199 Depth=2
	s_wait_xcnt 0x0
	s_or_b32 exec_lo, exec_lo, s41
	s_delay_alu instid0(SALU_CYCLE_1)
	s_and_b32 s20, s20, exec_lo
                                        ; implicit-def: $vgpr112_vgpr113
	s_and_not1_saveexec_b32 s13, s13
	s_cbranch_execnz .LBB6_234
.LBB6_216:                              ;   in Loop: Header=BB6_199 Depth=2
	s_or_b32 exec_lo, exec_lo, s13
	s_and_saveexec_b32 s13, s20
.LBB6_217:                              ;   in Loop: Header=BB6_199 Depth=2
	v_mul_u64_e32 v[14:15], v[2:3], v[28:29]
.LBB6_218:                              ;   in Loop: Header=BB6_199 Depth=2
	s_or_b32 exec_lo, exec_lo, s13
	v_and_b32_e32 v2, 0x2000, v30
	s_delay_alu instid0(VALU_DEP_2)
	v_lshl_add_u64 v[14:15], v[14:15], 3, v[32:33]
	s_mov_b32 s13, exec_lo
	ds_store_b64 v0, v[14:15] offset:784
	v_cmpx_ne_u32_e32 0, v2
	s_cbranch_execz .LBB6_220
; %bb.219:                              ;   in Loop: Header=BB6_199 Depth=2
	ds_load_b64 v[14:15], v0 offset:872
	s_wait_dscnt 0x0
	v_add_nc_u64_e32 v[14:15], 1, v[14:15]
	ds_store_b64 v0, v[14:15] offset:872
.LBB6_220:                              ;   in Loop: Header=BB6_199 Depth=2
	s_or_b32 exec_lo, exec_lo, s13
	v_mov_b64_e32 v[112:113], v[12:13]
.LBB6_221:                              ;   in Loop: Header=BB6_199 Depth=2
	s_or_b32 exec_lo, exec_lo, s17
	s_xor_b32 s13, s16, -1
	s_delay_alu instid0(SALU_CYCLE_1) | instskip(NEXT) | instid1(SALU_CYCLE_1)
	s_and_b32 s13, exec_lo, s13
	s_or_b32 s15, s13, s15
	s_and_saveexec_b32 s13, s2
	s_cbranch_execz .LBB6_242
; %bb.222:                              ;   in Loop: Header=BB6_199 Depth=2
	s_and_saveexec_b32 s16, s3
	s_delay_alu instid0(SALU_CYCLE_1)
	s_xor_b32 s16, exec_lo, s16
	s_cbranch_execz .LBB6_239
; %bb.223:                              ;   in Loop: Header=BB6_199 Depth=2
	s_and_saveexec_b32 s17, s6
	s_cbranch_execz .LBB6_238
; %bb.224:                              ;   in Loop: Header=BB6_199 Depth=2
	s_mov_b32 s41, exec_lo
	s_mov_b32 s20, exec_lo
	v_mbcnt_lo_u32_b32 v2, s41, 0
	global_wb scope:SCOPE_DEV
	s_wait_storecnt 0x0
	s_wait_loadcnt_dscnt 0x0
	global_inv scope:SCOPE_DEV
	v_cmpx_eq_u32_e32 0, v2
	s_cbranch_execz .LBB6_226
; %bb.225:                              ;   in Loop: Header=BB6_199 Depth=2
	s_bcnt1_i32_b32 s41, s41
	s_delay_alu instid0(SALU_CYCLE_1)
	v_mov_b32_e32 v2, s41
	s_wait_loadcnt 0x0
	ds_add_u64 v2, v[2:3]
	s_trap 2
.LBB6_226:                              ;   in Loop: Header=BB6_199 Depth=2
	s_or_b32 exec_lo, exec_lo, s20
	s_trap 2
	ds_load_b64 v[12:13], v2
	s_wait_dscnt 0x0
	v_add_nc_u64_e32 v[36:37], v[36:37], v[48:49]
	s_mov_b32 s20, exec_lo
	s_delay_alu instid0(VALU_DEP_1)
	v_cmpx_lt_u64_e64 v[12:13], v[36:37]
	s_cbranch_execz .LBB6_237
; %bb.227:                              ;   in Loop: Header=BB6_199 Depth=2
	s_mov_b32 s41, 0
	s_mov_b32 s72, 0
                                        ; implicit-def: $sgpr44
                                        ; implicit-def: $sgpr45
	s_branch .LBB6_229
.LBB6_228:                              ;   in Loop: Header=BB6_229 Depth=3
	s_or_b32 exec_lo, exec_lo, s74
	s_delay_alu instid0(SALU_CYCLE_1) | instskip(NEXT) | instid1(SALU_CYCLE_1)
	s_and_b32 s73, exec_lo, s75
	s_or_b32 s41, s73, s41
	s_and_not1_b32 s44, s44, exec_lo
	s_and_b32 s73, s45, exec_lo
	s_delay_alu instid0(SALU_CYCLE_1)
	s_or_b32 s44, s44, s73
	s_and_not1_b32 exec_lo, exec_lo, s41
	s_cbranch_execz .LBB6_235
.LBB6_229:                              ;   Parent Loop BB6_47 Depth=1
                                        ;     Parent Loop BB6_199 Depth=2
                                        ; =>    This Inner Loop Header: Depth=3
	s_add_co_i32 s72, s72, 1
	s_delay_alu instid0(SALU_CYCLE_1) | instskip(SKIP_1) | instid1(SALU_CYCLE_1)
	s_cmp_lg_u32 s72, 0x2710
	s_cselect_b32 s73, -1, 0
	s_and_b32 vcc_lo, exec_lo, s73
	s_cbranch_vccz .LBB6_231
; %bb.230:                              ;   in Loop: Header=BB6_229 Depth=3
	s_mov_b32 s75, -1
	s_or_b32 s45, s45, exec_lo
	s_and_saveexec_b32 s74, s73
	s_cbranch_execz .LBB6_228
	s_branch .LBB6_232
.LBB6_231:                              ;   in Loop: Header=BB6_229 Depth=3
	s_trap 2
	ds_load_b64 v[12:13], v2
	s_and_not1_b32 s73, s73, exec_lo
	s_mov_b32 s72, 0
	s_wait_loadcnt_dscnt 0x0
	flat_load_b32 v2, v[12:13] scope:SCOPE_SYS
	s_wait_loadcnt_dscnt 0x0
	global_inv scope:SCOPE_SYS
	v_cmp_eq_u32_e32 vcc_lo, 0, v2
	s_and_b32 s74, vcc_lo, exec_lo
	s_delay_alu instid0(SALU_CYCLE_1)
	s_or_b32 s73, s73, s74
	s_mov_b32 s75, -1
	s_or_b32 s45, s45, exec_lo
	s_and_saveexec_b32 s74, s73
	s_cbranch_execz .LBB6_228
.LBB6_232:                              ;   in Loop: Header=BB6_229 Depth=3
	s_sleep 1
	s_trap 2
	ds_load_b64 v[12:13], v2
	s_wait_dscnt 0x0
	s_and_not1_b32 s45, s45, exec_lo
	v_cmp_ge_u64_e32 vcc_lo, v[12:13], v[36:37]
	s_or_not1_b32 s75, vcc_lo, exec_lo
	s_branch .LBB6_228
.LBB6_233:                              ;   in Loop: Header=BB6_199 Depth=2
	s_and_not1_saveexec_b32 s13, s13
	s_cbranch_execz .LBB6_216
.LBB6_234:                              ;   in Loop: Header=BB6_199 Depth=2
	v_and_b32_e32 v2, 7, v112
	s_or_b32 s20, s20, exec_lo
	s_or_b32 exec_lo, exec_lo, s13
	s_and_saveexec_b32 s13, s20
	s_cbranch_execnz .LBB6_217
	s_branch .LBB6_218
.LBB6_235:                              ;   in Loop: Header=BB6_199 Depth=2
	s_or_b32 exec_lo, exec_lo, s41
	s_and_saveexec_b32 s41, s44
	s_delay_alu instid0(SALU_CYCLE_1)
	s_xor_b32 s41, exec_lo, s41
	s_cbranch_execz .LBB6_237
; %bb.236:                              ;   in Loop: Header=BB6_199 Depth=2
	ds_store_b32 v2, v121
	s_trap 2
.LBB6_237:                              ;   in Loop: Header=BB6_199 Depth=2
	s_or_b32 exec_lo, exec_lo, s20
	;;#ASMSTART
	s_wakeup
	;;#ASMEND
.LBB6_238:                              ;   in Loop: Header=BB6_199 Depth=2
	s_or_b32 exec_lo, exec_lo, s17
.LBB6_239:                              ;   in Loop: Header=BB6_199 Depth=2
	s_and_not1_saveexec_b32 s16, s16
	s_cbranch_execz .LBB6_241
; %bb.240:                              ;   in Loop: Header=BB6_199 Depth=2
	global_wb scope:SCOPE_DEV
	s_wait_storecnt 0x0
	s_wait_loadcnt_dscnt 0x0
	global_inv scope:SCOPE_DEV
	s_barrier_signal -1
	s_barrier_wait -1
.LBB6_241:                              ;   in Loop: Header=BB6_199 Depth=2
	s_or_b32 exec_lo, exec_lo, s16
.LBB6_242:                              ;   in Loop: Header=BB6_199 Depth=2
	s_delay_alu instid0(SALU_CYCLE_1) | instskip(SKIP_1) | instid1(SALU_CYCLE_1)
	s_or_b32 exec_lo, exec_lo, s13
                                        ; implicit-def: $vgpr2
	s_and_saveexec_b32 s13, s12
	s_xor_b32 s16, exec_lo, s13
	s_cbranch_execz .LBB6_246
; %bb.243:                              ;   in Loop: Header=BB6_199 Depth=2
	s_trap 2
	ds_load_b32 v2, v9
	v_cmp_lt_i32_e32 vcc_lo, 0, v8
	s_wait_dscnt 0x0
	v_readfirstlane_b32 s13, v2
	v_and_b32_e32 v2, 16, v30
	s_cmp_eq_u32 s13, 0
	s_delay_alu instid0(VALU_DEP_1) | instskip(SKIP_3) | instid1(SALU_CYCLE_1)
	v_cmp_ne_u32_e64 s13, 0, v2
	s_cselect_b32 s17, -1, 0
	v_and_b32_e32 v2, 16, v30
	s_and_b32 s17, vcc_lo, s17
	s_and_b32 s17, s13, s17
	s_delay_alu instid0(SALU_CYCLE_1)
	s_and_saveexec_b32 s13, s17
	s_cbranch_execz .LBB6_245
; %bb.244:                              ;   in Loop: Header=BB6_199 Depth=2
	v_mov_b32_e32 v2, 1
	global_wb scope:SCOPE_SYS
	s_wait_loadcnt 0x0
	s_wait_storecnt 0x0
	global_inv scope:SCOPE_SYS
.LBB6_245:                              ;   in Loop: Header=BB6_199 Depth=2
	s_or_b32 exec_lo, exec_lo, s13
	s_and_not1_saveexec_b32 s13, s16
	s_cbranch_execz .LBB6_265
	s_branch .LBB6_247
.LBB6_246:                              ;   in Loop: Header=BB6_199 Depth=2
	s_and_not1_saveexec_b32 s13, s16
	s_cbranch_execz .LBB6_265
.LBB6_247:                              ;   in Loop: Header=BB6_199 Depth=2
	s_and_saveexec_b32 s16, s3
	s_delay_alu instid0(SALU_CYCLE_1)
	s_xor_b32 s16, exec_lo, s16
	s_cbranch_execz .LBB6_262
; %bb.248:                              ;   in Loop: Header=BB6_199 Depth=2
	s_and_saveexec_b32 s17, s6
	s_cbranch_execz .LBB6_261
; %bb.249:                              ;   in Loop: Header=BB6_199 Depth=2
	s_mov_b32 s41, exec_lo
	s_mov_b32 s20, exec_lo
	v_mbcnt_lo_u32_b32 v2, s41, 0
	;;#ASMSTART
	s_waitcnt lgkmcnt(0) vmcnt(0)
	;;#ASMEND
	s_delay_alu instid0(VALU_DEP_1)
	v_cmpx_eq_u32_e32 0, v2
	s_cbranch_execz .LBB6_251
; %bb.250:                              ;   in Loop: Header=BB6_199 Depth=2
	s_bcnt1_i32_b32 s41, s41
	s_delay_alu instid0(SALU_CYCLE_1)
	v_mov_b32_e32 v2, s41
	s_wait_storecnt 0x0
	s_wait_loadcnt_dscnt 0x0
	ds_add_u64 v2, v[2:3]
	s_trap 2
.LBB6_251:                              ;   in Loop: Header=BB6_199 Depth=2
	s_or_b32 exec_lo, exec_lo, s20
	s_trap 2
	ds_load_b64 v[12:13], v2
	s_wait_dscnt 0x0
	v_add_nc_u64_e32 v[36:37], v[36:37], v[48:49]
	s_mov_b32 s20, exec_lo
	s_delay_alu instid0(VALU_DEP_1)
	v_cmpx_lt_u64_e64 v[12:13], v[36:37]
	s_cbranch_execz .LBB6_260
; %bb.252:                              ;   in Loop: Header=BB6_199 Depth=2
	s_mov_b32 s41, 0
	s_mov_b32 s72, 0
                                        ; implicit-def: $sgpr44
                                        ; implicit-def: $sgpr45
	s_branch .LBB6_254
.LBB6_253:                              ;   in Loop: Header=BB6_254 Depth=3
	s_or_b32 exec_lo, exec_lo, s74
	s_delay_alu instid0(SALU_CYCLE_1) | instskip(NEXT) | instid1(SALU_CYCLE_1)
	s_and_b32 s73, exec_lo, s75
	s_or_b32 s41, s73, s41
	s_and_not1_b32 s44, s44, exec_lo
	s_and_b32 s73, s45, exec_lo
	s_delay_alu instid0(SALU_CYCLE_1)
	s_or_b32 s44, s44, s73
	s_and_not1_b32 exec_lo, exec_lo, s41
	s_cbranch_execz .LBB6_258
.LBB6_254:                              ;   Parent Loop BB6_47 Depth=1
                                        ;     Parent Loop BB6_199 Depth=2
                                        ; =>    This Inner Loop Header: Depth=3
	s_add_co_i32 s72, s72, 1
	s_delay_alu instid0(SALU_CYCLE_1) | instskip(SKIP_1) | instid1(SALU_CYCLE_1)
	s_cmp_lg_u32 s72, 0x2710
	s_cselect_b32 s73, -1, 0
	s_and_b32 vcc_lo, exec_lo, s73
	s_cbranch_vccz .LBB6_256
; %bb.255:                              ;   in Loop: Header=BB6_254 Depth=3
	s_mov_b32 s75, -1
	s_or_b32 s45, s45, exec_lo
	s_and_saveexec_b32 s74, s73
	s_cbranch_execz .LBB6_253
	s_branch .LBB6_257
.LBB6_256:                              ;   in Loop: Header=BB6_254 Depth=3
	s_trap 2
	ds_load_b64 v[12:13], v2
	s_and_not1_b32 s73, s73, exec_lo
	s_mov_b32 s72, 0
	s_wait_storecnt 0x0
	s_wait_loadcnt_dscnt 0x0
	flat_load_b32 v2, v[12:13] scope:SCOPE_SYS
	s_wait_loadcnt_dscnt 0x0
	global_inv scope:SCOPE_SYS
	v_cmp_eq_u32_e32 vcc_lo, 0, v2
	s_and_b32 s74, vcc_lo, exec_lo
	s_delay_alu instid0(SALU_CYCLE_1)
	s_or_b32 s73, s73, s74
	s_mov_b32 s75, -1
	s_or_b32 s45, s45, exec_lo
	s_and_saveexec_b32 s74, s73
	s_cbranch_execz .LBB6_253
.LBB6_257:                              ;   in Loop: Header=BB6_254 Depth=3
	s_sleep 1
	s_trap 2
	ds_load_b64 v[12:13], v2
	s_wait_dscnt 0x0
	s_and_not1_b32 s45, s45, exec_lo
	v_cmp_ge_u64_e32 vcc_lo, v[12:13], v[36:37]
	s_or_not1_b32 s75, vcc_lo, exec_lo
	s_branch .LBB6_253
.LBB6_258:                              ;   in Loop: Header=BB6_199 Depth=2
	s_or_b32 exec_lo, exec_lo, s41
	s_and_saveexec_b32 s41, s44
	s_delay_alu instid0(SALU_CYCLE_1)
	s_xor_b32 s41, exec_lo, s41
	s_cbranch_execz .LBB6_260
; %bb.259:                              ;   in Loop: Header=BB6_199 Depth=2
	ds_store_b32 v2, v121
	s_trap 2
.LBB6_260:                              ;   in Loop: Header=BB6_199 Depth=2
	s_or_b32 exec_lo, exec_lo, s20
	;;#ASMSTART
	s_wakeup
	;;#ASMEND
.LBB6_261:                              ;   in Loop: Header=BB6_199 Depth=2
	s_or_b32 exec_lo, exec_lo, s17
.LBB6_262:                              ;   in Loop: Header=BB6_199 Depth=2
	s_and_not1_saveexec_b32 s16, s16
	s_cbranch_execz .LBB6_264
; %bb.263:                              ;   in Loop: Header=BB6_199 Depth=2
	;;#ASMSTART
	s_waitcnt lgkmcnt(0) vmcnt(0)
	;;#ASMEND
	s_barrier_signal -1
	s_barrier_wait -1
.LBB6_264:                              ;   in Loop: Header=BB6_199 Depth=2
	s_or_b32 exec_lo, exec_lo, s16
	v_and_b32_e32 v2, 16, v30
.LBB6_265:                              ;   in Loop: Header=BB6_199 Depth=2
	s_or_b32 exec_lo, exec_lo, s13
	s_delay_alu instid0(SALU_CYCLE_1) | instskip(NEXT) | instid1(VALU_DEP_1)
	s_mov_b32 s13, exec_lo
	v_cmpx_ne_u32_e32 0, v2
	s_cbranch_execz .LBB6_198
; %bb.266:                              ;   in Loop: Header=BB6_199 Depth=2
	s_and_saveexec_b32 s16, s5
	s_cbranch_execz .LBB6_197
; %bb.267:                              ;   in Loop: Header=BB6_199 Depth=2
	global_wb scope:SCOPE_SYS
	s_wait_storecnt 0x0
	s_wait_loadcnt_dscnt 0x0
	flat_store_b32 v[34:35], v121 scope:SCOPE_SYS
	s_branch .LBB6_197
.LBB6_268:                              ;   in Loop: Header=BB6_47 Depth=1
	s_or_b32 exec_lo, exec_lo, s15
.LBB6_269:                              ;   in Loop: Header=BB6_47 Depth=1
	s_delay_alu instid0(SALU_CYCLE_1) | instskip(NEXT) | instid1(SALU_CYCLE_1)
	s_or_b32 exec_lo, exec_lo, s14
	s_and_not1_b32 vcc_lo, exec_lo, s58
	s_cbranch_vccnz .LBB6_494
; %bb.270:                              ;   in Loop: Header=BB6_47 Depth=1
	s_mov_b32 s14, 2
	s_branch .LBB6_273
.LBB6_271:                              ;   in Loop: Header=BB6_273 Depth=2
	s_or_b32 exec_lo, exec_lo, s16
.LBB6_272:                              ;   in Loop: Header=BB6_273 Depth=2
	s_delay_alu instid0(SALU_CYCLE_1) | instskip(SKIP_1) | instid1(SALU_CYCLE_1)
	s_or_b32 exec_lo, exec_lo, s15
	s_add_co_i32 s14, s14, 1
	s_cmp_eq_u32 s14, s18
	s_cbranch_scc1 .LBB6_494
.LBB6_273:                              ;   Parent Loop BB6_47 Depth=1
                                        ; =>  This Loop Header: Depth=2
                                        ;       Child Loop BB6_276 Depth 3
                                        ;         Child Loop BB6_284 Depth 4
                                        ;         Child Loop BB6_312 Depth 4
	;; [unrolled: 1-line block ×9, first 2 shown]
                                        ;       Child Loop BB6_422 Depth 3
                                        ;         Child Loop BB6_428 Depth 4
                                        ;         Child Loop BB6_456 Depth 4
	;; [unrolled: 1-line block ×3, first 2 shown]
	s_sub_co_i32 s13, s56, s14
	v_mov_b32_e32 v10, 0
	s_cmp_ge_i32 s13, s18
	s_cselect_b32 s15, s18, 0
	s_delay_alu instid0(SALU_CYCLE_1) | instskip(NEXT) | instid1(SALU_CYCLE_1)
	s_sub_co_i32 s16, s13, s15
	s_ashr_i32 s17, s16, 31
	s_delay_alu instid0(SALU_CYCLE_1) | instskip(SKIP_1) | instid1(VALU_DEP_1)
	v_mul_u64_e32 v[12:13], s[16:17], v[102:103]
	s_mov_b32 s16, 0
	v_sub_nc_u64_e32 v[8:9], v[114:115], v[12:13]
	s_delay_alu instid0(VALU_DEP_1) | instskip(NEXT) | instid1(VALU_DEP_1)
	v_min_i64 v[8:9], v[102:103], v[8:9]
	v_max_i32_e32 v22, 0, v8
	v_cmp_lt_i32_e32 vcc_lo, 0, v8
	s_delay_alu instid0(VALU_DEP_2) | instskip(SKIP_1) | instid1(VALU_DEP_1)
	v_add_nc_u32_e32 v2, 31, v22
	s_and_b32 s13, s61, vcc_lo
	v_lshrrev_b32_e32 v2, 1, v2
	s_delay_alu instid0(VALU_DEP_1) | instskip(NEXT) | instid1(VALU_DEP_1)
	v_and_b32_e32 v9, 0x3ffffff0, v2
	v_dual_mov_b32 v2, 0 :: v_dual_max_i32 v8, s57, v9
	s_and_saveexec_b32 s15, s13
	s_cbranch_execz .LBB6_419
; %bb.274:                              ;   in Loop: Header=BB6_273 Depth=2
	v_mov_b32_e32 v10, 0
	s_mov_b32 s20, 1
	s_mov_b32 s17, -1
	s_branch .LBB6_276
.LBB6_275:                              ;   in Loop: Header=BB6_276 Depth=3
	s_wait_xcnt 0x0
	s_or_b32 exec_lo, exec_lo, s13
	v_dual_add_nc_u32 v10, v8, v10 :: v_dual_mov_b32 v2, s20
	s_xor_b32 s13, s17, -1
	s_mov_b32 s17, 0
	s_mov_b32 s20, 2
	s_delay_alu instid0(VALU_DEP_1) | instskip(SKIP_1) | instid1(SALU_CYCLE_1)
	v_cmp_ge_i32_e32 vcc_lo, v10, v22
	s_or_b32 s13, s13, vcc_lo
	s_and_b32 s13, exec_lo, s13
	s_delay_alu instid0(SALU_CYCLE_1) | instskip(NEXT) | instid1(SALU_CYCLE_1)
	s_or_b32 s16, s13, s16
	s_and_not1_b32 exec_lo, exec_lo, s16
	s_cbranch_execz .LBB6_418
.LBB6_276:                              ;   Parent Loop BB6_47 Depth=1
                                        ;     Parent Loop BB6_273 Depth=2
                                        ; =>    This Loop Header: Depth=3
                                        ;         Child Loop BB6_284 Depth 4
                                        ;         Child Loop BB6_312 Depth 4
                                        ;         Child Loop BB6_331 Depth 4
                                        ;         Child Loop BB6_357 Depth 4
                                        ;         Child Loop BB6_362 Depth 4
                                        ;         Child Loop BB6_370 Depth 4
                                        ;         Child Loop BB6_375 Depth 4
                                        ;         Child Loop BB6_384 Depth 4
                                        ;         Child Loop BB6_403 Depth 4
	s_and_saveexec_b32 s13, s0
	s_cbranch_execz .LBB6_278
; %bb.277:                              ;   in Loop: Header=BB6_276 Depth=3
	s_trap 2
	ds_load_b64 v[14:15], v2
	v_ashrrev_i32_e32 v11, 31, v10
	s_wait_dscnt 0x0
	v_lshl_add_u64 v[14:15], v[116:117], 3, v[14:15]
	s_delay_alu instid0(VALU_DEP_1) | instskip(NEXT) | instid1(VALU_DEP_1)
	v_lshl_add_u64 v[14:15], v[12:13], 3, v[14:15]
	v_lshl_add_u64 v[14:15], v[10:11], 3, v[14:15]
	ds_store_b64 v2, v[14:15]
	ds_store_b64 v2, v[50:51]
.LBB6_278:                              ;   in Loop: Header=BB6_276 Depth=3
	s_or_b32 exec_lo, exec_lo, s13
	v_sub_nc_u32_e32 v2, v22, v10
	v_and_b32_e32 v9, 12, v30
	s_mov_b32 s41, exec_lo
	s_delay_alu instid0(VALU_DEP_2) | instskip(NEXT) | instid1(VALU_DEP_2)
	v_min_i32_e32 v8, v8, v2
	v_cmpx_ne_u32_e32 0, v9
	s_cbranch_execz .LBB6_304
; %bb.279:                              ;   in Loop: Header=BB6_276 Depth=3
	v_and_b32_e32 v2, 8, v30
	v_add_nc_u64_e32 v[14:15], 2, v[112:113]
	s_mov_b32 s44, exec_lo
	s_wait_loadcnt_dscnt 0x1
	s_delay_alu instid0(VALU_DEP_2) | instskip(NEXT) | instid1(VALU_DEP_1)
	v_add_nc_u64_e32 v[16:17], v[38:39], v[2:3]
	v_cmpx_lt_u64_e64 v[16:17], v[14:15]
	s_cbranch_execz .LBB6_291
; %bb.280:                              ;   in Loop: Header=BB6_276 Depth=3
	v_and_b32_e32 v9, 64, v30
	s_mov_b32 s45, 0
	s_mov_b32 s75, 0
                                        ; implicit-def: $sgpr72
                                        ; implicit-def: $sgpr73
                                        ; implicit-def: $sgpr74
	s_delay_alu instid0(VALU_DEP_1)
	v_cmp_eq_u32_e32 vcc_lo, 0, v9
	s_branch .LBB6_284
.LBB6_281:                              ;   in Loop: Header=BB6_284 Depth=4
	s_wait_loadcnt_dscnt 0x0
	v_add_nc_u64_e32 v[16:17], v[38:39], v[2:3]
	s_or_b32 s78, s78, exec_lo
	s_delay_alu instid0(VALU_DEP_1)
	v_cmp_ge_u64_e64 s13, v[16:17], v[14:15]
	s_or_not1_b32 s77, s13, exec_lo
.LBB6_282:                              ;   in Loop: Header=BB6_284 Depth=4
	s_or_b32 exec_lo, exec_lo, s88
	s_delay_alu instid0(SALU_CYCLE_1)
	s_and_not1_b32 s13, s74, exec_lo
	s_and_b32 s74, s78, exec_lo
	s_and_not1_b32 s73, s73, exec_lo
	s_and_b32 s77, s77, exec_lo
	s_or_b32 s74, s13, s74
	s_or_b32 s73, s73, s77
.LBB6_283:                              ;   in Loop: Header=BB6_284 Depth=4
	s_or_b32 exec_lo, exec_lo, s76
	s_delay_alu instid0(SALU_CYCLE_1) | instskip(NEXT) | instid1(SALU_CYCLE_1)
	s_and_b32 s13, exec_lo, s73
	s_or_b32 s45, s13, s45
	s_and_not1_b32 s13, s72, exec_lo
	s_and_b32 s72, s74, exec_lo
	s_delay_alu instid0(SALU_CYCLE_1)
	s_or_b32 s72, s13, s72
	s_and_not1_b32 exec_lo, exec_lo, s45
	s_cbranch_execz .LBB6_288
.LBB6_284:                              ;   Parent Loop BB6_47 Depth=1
                                        ;     Parent Loop BB6_273 Depth=2
                                        ;       Parent Loop BB6_276 Depth=3
                                        ; =>      This Inner Loop Header: Depth=4
	s_sleep 1
	s_wait_loadcnt_dscnt 0x0
	flat_load_b64 v[38:39], v[26:27] scope:SCOPE_SYS
	s_or_b32 s74, s74, exec_lo
	s_or_b32 s73, s73, exec_lo
                                        ; implicit-def: $vgpr9
	s_wait_xcnt 0x0
	s_and_saveexec_b32 s76, vcc_lo
	s_cbranch_execz .LBB6_283
; %bb.285:                              ;   in Loop: Header=BB6_284 Depth=4
	s_cmp_lt_i32 s75, 0x270f
	s_mov_b32 s77, -1
	s_cselect_b32 s79, -1, 0
	s_cmp_gt_i32 s75, 0x270e
	s_cbranch_scc0 .LBB6_287
; %bb.286:                              ;   in Loop: Header=BB6_284 Depth=4
	s_trap 2
	ds_load_b64 v[16:17], v11
	s_and_not1_b32 s75, s79, exec_lo
	s_mov_b32 s78, 0
	s_wait_storecnt 0x0
	s_wait_loadcnt_dscnt 0x0
	flat_load_b32 v9, v[16:17] scope:SCOPE_SYS
	s_wait_loadcnt_dscnt 0x0
	global_inv scope:SCOPE_SYS
	v_cmp_eq_u32_e64 s13, 0, v9
	s_and_b32 s13, s13, exec_lo
	s_delay_alu instid0(SALU_CYCLE_1)
	s_or_b32 s79, s75, s13
	s_mov_b32 s75, 0
	s_and_saveexec_b32 s88, s79
	s_cbranch_execz .LBB6_282
	s_branch .LBB6_281
.LBB6_287:                              ;   in Loop: Header=BB6_284 Depth=4
	s_add_co_i32 s75, s75, 1
	s_mov_b32 s78, -1
                                        ; implicit-def: $vgpr9
	s_and_saveexec_b32 s88, s79
	s_cbranch_execz .LBB6_282
	s_branch .LBB6_281
.LBB6_288:                              ;   in Loop: Header=BB6_276 Depth=3
	s_or_b32 exec_lo, exec_lo, s45
	s_xor_b32 s13, s72, -1
	s_delay_alu instid0(SALU_CYCLE_1) | instskip(NEXT) | instid1(SALU_CYCLE_1)
	s_and_saveexec_b32 s45, s13
	s_xor_b32 s13, exec_lo, s45
	s_cbranch_execz .LBB6_290
; %bb.289:                              ;   in Loop: Header=BB6_276 Depth=3
	v_or_b32_e32 v30, 64, v30
	s_wait_storecnt 0x0
	s_wait_loadcnt_dscnt 0x0
	ds_store_b32 v11, v9
	s_trap 2
.LBB6_290:                              ;   in Loop: Header=BB6_276 Depth=3
	s_or_b32 exec_lo, exec_lo, s13
.LBB6_291:                              ;   in Loop: Header=BB6_276 Depth=3
	s_delay_alu instid0(SALU_CYCLE_1) | instskip(SKIP_3) | instid1(VALU_DEP_1)
	s_or_b32 exec_lo, exec_lo, s44
	v_and_b32_e32 v9, 0x108, v30
	s_mov_b32 s13, exec_lo
	;;#ASMSTART
	s_wakeup
	;;#ASMEND
                                        ; implicit-def: $vgpr16_vgpr17
	v_cmpx_ne_u32_e32 0x108, v9
	s_xor_b32 s13, exec_lo, s13
; %bb.292:                              ;   in Loop: Header=BB6_276 Depth=3
	v_dual_mov_b32 v17, v3 :: v_dual_bitop2_b32 v16, 7, v112 bitop3:0x40
                                        ; implicit-def: $vgpr112_vgpr113
; %bb.293:                              ;   in Loop: Header=BB6_276 Depth=3
	s_and_not1_saveexec_b32 s13, s13
	s_cbranch_execz .LBB6_295
; %bb.294:                              ;   in Loop: Header=BB6_276 Depth=3
	v_dual_mov_b32 v17, v3 :: v_dual_bitop2_b32 v16, 7, v112 bitop3:0x40
	v_ashrrev_i32_e32 v9, 31, v8
	s_delay_alu instid0(VALU_DEP_2) | instskip(NEXT) | instid1(VALU_DEP_2)
	v_mad_nc_u64_u32 v[18:19], v16, 24, v[6:7]
	v_lshlrev_b64_e32 v[52:53], 3, v[8:9]
	flat_store_b64 v[18:19], v[52:53] offset:8
.LBB6_295:                              ;   in Loop: Header=BB6_276 Depth=3
	s_wait_xcnt 0x0
	s_or_b32 exec_lo, exec_lo, s13
	v_and_b32_e32 v9, 0x100, v30
	s_mov_b32 s13, -1
	s_mov_b32 s44, exec_lo
                                        ; implicit-def: $vgpr18_vgpr19
	s_delay_alu instid0(VALU_DEP_1)
	v_cmpx_ne_u32_e32 0, v9
	s_cbranch_execz .LBB6_299
; %bb.296:                              ;   in Loop: Header=BB6_276 Depth=3
	v_mad_nc_u64_u32 v[112:113], v16, 24, v[6:7]
	s_mov_b32 s45, exec_lo
                                        ; implicit-def: $vgpr18_vgpr19
	s_delay_alu instid0(VALU_DEP_1)
	v_mad_u32 v113, v17, 24, v113
	flat_load_b32 v9, v[112:113]
	s_wait_loadcnt_dscnt 0x0
	v_cmp_ne_u32_e32 vcc_lo, 1, v9
	s_wait_xcnt 0x0
	v_cmpx_eq_u32_e32 1, v9
	s_cbranch_execz .LBB6_298
; %bb.297:                              ;   in Loop: Header=BB6_276 Depth=3
	flat_load_b32 v18, v[112:113] offset:4 scope:SCOPE_SYS
	s_wait_loadcnt_dscnt 0x0
	v_ashrrev_i32_e32 v19, 31, v18
	s_delay_alu instid0(VALU_DEP_1)
	v_lshrrev_b64 v[18:19], 3, v[18:19]
.LBB6_298:                              ;   in Loop: Header=BB6_276 Depth=3
	s_wait_xcnt 0x0
	s_or_b32 exec_lo, exec_lo, s45
	s_delay_alu instid0(SALU_CYCLE_1)
	s_or_not1_b32 s13, vcc_lo, exec_lo
.LBB6_299:                              ;   in Loop: Header=BB6_276 Depth=3
	s_or_b32 exec_lo, exec_lo, s44
	s_and_saveexec_b32 s44, s13
; %bb.300:                              ;   in Loop: Header=BB6_276 Depth=3
	v_mul_u64_e32 v[18:19], v[16:17], v[28:29]
; %bb.301:                              ;   in Loop: Header=BB6_276 Depth=3
	s_or_b32 exec_lo, exec_lo, s44
	v_cmp_eq_u32_e32 vcc_lo, 0, v2
	v_and_b32_e32 v9, 0x2000, v30
	s_delay_alu instid0(VALU_DEP_3) | instskip(SKIP_2) | instid1(VALU_DEP_1)
	v_lshl_add_u64 v[16:17], v[18:19], 3, v[32:33]
	s_mov_b32 s13, exec_lo
	v_cndmask_b32_e32 v2, 0xc8, v122, vcc_lo
	v_add_nc_u32_e32 v2, v0, v2
	ds_store_b64 v2, v[16:17] offset:584
	v_cmpx_ne_u32_e32 0, v9
	s_cbranch_execz .LBB6_303
; %bb.302:                              ;   in Loop: Header=BB6_276 Depth=3
	ds_load_b64 v[16:17], v0 offset:872
	s_wait_dscnt 0x0
	v_add_nc_u64_e32 v[16:17], 1, v[16:17]
	ds_store_b64 v0, v[16:17] offset:872
.LBB6_303:                              ;   in Loop: Header=BB6_276 Depth=3
	s_or_b32 exec_lo, exec_lo, s13
	v_mov_b64_e32 v[112:113], v[14:15]
.LBB6_304:                              ;   in Loop: Header=BB6_276 Depth=3
	s_or_b32 exec_lo, exec_lo, s41
	s_and_saveexec_b32 s13, s2
	s_cbranch_execz .LBB6_323
; %bb.305:                              ;   in Loop: Header=BB6_276 Depth=3
	s_and_saveexec_b32 s41, s3
	s_delay_alu instid0(SALU_CYCLE_1)
	s_xor_b32 s41, exec_lo, s41
	s_cbranch_execz .LBB6_320
; %bb.306:                              ;   in Loop: Header=BB6_276 Depth=3
	s_and_saveexec_b32 s44, s6
	s_cbranch_execz .LBB6_319
; %bb.307:                              ;   in Loop: Header=BB6_276 Depth=3
	s_mov_b32 s72, exec_lo
	s_mov_b32 s45, exec_lo
	v_mbcnt_lo_u32_b32 v2, s72, 0
	global_wb scope:SCOPE_DEV
	s_wait_storecnt 0x0
	s_wait_loadcnt_dscnt 0x0
	global_inv scope:SCOPE_DEV
	v_cmpx_eq_u32_e32 0, v2
	s_cbranch_execz .LBB6_309
; %bb.308:                              ;   in Loop: Header=BB6_276 Depth=3
	s_bcnt1_i32_b32 s72, s72
	s_delay_alu instid0(SALU_CYCLE_1)
	v_mov_b32_e32 v2, s72
	s_wait_loadcnt 0x0
	ds_add_u64 v2, v[2:3]
	s_trap 2
.LBB6_309:                              ;   in Loop: Header=BB6_276 Depth=3
	s_or_b32 exec_lo, exec_lo, s45
	s_trap 2
	ds_load_b64 v[14:15], v2
	s_wait_dscnt 0x0
	v_add_nc_u64_e32 v[36:37], v[36:37], v[48:49]
	s_mov_b32 s45, exec_lo
	s_delay_alu instid0(VALU_DEP_1)
	v_cmpx_lt_u64_e64 v[14:15], v[36:37]
	s_cbranch_execz .LBB6_318
; %bb.310:                              ;   in Loop: Header=BB6_276 Depth=3
	s_mov_b32 s72, 0
	s_mov_b32 s75, 0
                                        ; implicit-def: $sgpr73
                                        ; implicit-def: $sgpr74
	s_branch .LBB6_312
.LBB6_311:                              ;   in Loop: Header=BB6_312 Depth=4
	s_or_b32 exec_lo, exec_lo, s77
	s_delay_alu instid0(SALU_CYCLE_1) | instskip(NEXT) | instid1(SALU_CYCLE_1)
	s_and_b32 s76, exec_lo, s78
	s_or_b32 s72, s76, s72
	s_and_not1_b32 s73, s73, exec_lo
	s_and_b32 s76, s74, exec_lo
	s_delay_alu instid0(SALU_CYCLE_1)
	s_or_b32 s73, s73, s76
	s_and_not1_b32 exec_lo, exec_lo, s72
	s_cbranch_execz .LBB6_316
.LBB6_312:                              ;   Parent Loop BB6_47 Depth=1
                                        ;     Parent Loop BB6_273 Depth=2
                                        ;       Parent Loop BB6_276 Depth=3
                                        ; =>      This Inner Loop Header: Depth=4
	s_add_co_i32 s75, s75, 1
	s_delay_alu instid0(SALU_CYCLE_1) | instskip(SKIP_1) | instid1(SALU_CYCLE_1)
	s_cmp_lg_u32 s75, 0x2710
	s_cselect_b32 s76, -1, 0
	s_and_b32 vcc_lo, exec_lo, s76
	s_cbranch_vccz .LBB6_314
; %bb.313:                              ;   in Loop: Header=BB6_312 Depth=4
	s_mov_b32 s78, -1
	s_or_b32 s74, s74, exec_lo
	s_and_saveexec_b32 s77, s76
	s_cbranch_execz .LBB6_311
	s_branch .LBB6_315
.LBB6_314:                              ;   in Loop: Header=BB6_312 Depth=4
	s_trap 2
	ds_load_b64 v[14:15], v2
	s_and_not1_b32 s76, s76, exec_lo
	s_mov_b32 s75, 0
	s_wait_loadcnt_dscnt 0x0
	flat_load_b32 v2, v[14:15] scope:SCOPE_SYS
	s_wait_loadcnt_dscnt 0x0
	global_inv scope:SCOPE_SYS
	v_cmp_eq_u32_e32 vcc_lo, 0, v2
	s_and_b32 s77, vcc_lo, exec_lo
	s_delay_alu instid0(SALU_CYCLE_1)
	s_or_b32 s76, s76, s77
	s_mov_b32 s78, -1
	s_or_b32 s74, s74, exec_lo
	s_and_saveexec_b32 s77, s76
	s_cbranch_execz .LBB6_311
.LBB6_315:                              ;   in Loop: Header=BB6_312 Depth=4
	s_sleep 1
	s_trap 2
	ds_load_b64 v[14:15], v2
	s_wait_dscnt 0x0
	s_and_not1_b32 s74, s74, exec_lo
	v_cmp_ge_u64_e32 vcc_lo, v[14:15], v[36:37]
	s_or_not1_b32 s78, vcc_lo, exec_lo
	s_branch .LBB6_311
.LBB6_316:                              ;   in Loop: Header=BB6_276 Depth=3
	s_or_b32 exec_lo, exec_lo, s72
	s_and_saveexec_b32 s72, s73
	s_delay_alu instid0(SALU_CYCLE_1)
	s_xor_b32 s72, exec_lo, s72
	s_cbranch_execz .LBB6_318
; %bb.317:                              ;   in Loop: Header=BB6_276 Depth=3
	ds_store_b32 v2, v121
	s_trap 2
.LBB6_318:                              ;   in Loop: Header=BB6_276 Depth=3
	s_or_b32 exec_lo, exec_lo, s45
	;;#ASMSTART
	s_wakeup
	;;#ASMEND
.LBB6_319:                              ;   in Loop: Header=BB6_276 Depth=3
	s_or_b32 exec_lo, exec_lo, s44
.LBB6_320:                              ;   in Loop: Header=BB6_276 Depth=3
	s_and_not1_saveexec_b32 s41, s41
	s_cbranch_execz .LBB6_322
; %bb.321:                              ;   in Loop: Header=BB6_276 Depth=3
	global_wb scope:SCOPE_DEV
	s_wait_storecnt 0x0
	s_wait_loadcnt_dscnt 0x0
	global_inv scope:SCOPE_DEV
	s_barrier_signal -1
	s_barrier_wait -1
.LBB6_322:                              ;   in Loop: Header=BB6_276 Depth=3
	s_or_b32 exec_lo, exec_lo, s41
.LBB6_323:                              ;   in Loop: Header=BB6_276 Depth=3
	s_delay_alu instid0(SALU_CYCLE_1) | instskip(SKIP_4) | instid1(VALU_DEP_1)
	s_or_b32 exec_lo, exec_lo, s13
	s_trap 2
	ds_load_b32 v9, v2
	v_and_b32_e32 v2, 0x4000, v30
	s_xor_b32 s13, s1, -1
	v_cmp_ne_u32_e32 vcc_lo, 0, v2
	s_and_b32 s41, s13, vcc_lo
	s_delay_alu instid0(SALU_CYCLE_1)
	s_and_saveexec_b32 s13, s41
	s_cbranch_execz .LBB6_342
; %bb.324:                              ;   in Loop: Header=BB6_276 Depth=3
	s_and_saveexec_b32 s41, s3
	s_delay_alu instid0(SALU_CYCLE_1)
	s_xor_b32 s41, exec_lo, s41
	s_cbranch_execz .LBB6_339
; %bb.325:                              ;   in Loop: Header=BB6_276 Depth=3
	s_and_saveexec_b32 s44, s6
	s_cbranch_execz .LBB6_338
; %bb.326:                              ;   in Loop: Header=BB6_276 Depth=3
	s_mov_b32 s72, exec_lo
	s_mov_b32 s45, exec_lo
	v_mbcnt_lo_u32_b32 v2, s72, 0
	global_wb scope:SCOPE_DEV
	s_wait_storecnt 0x0
	s_wait_loadcnt_dscnt 0x0
	global_inv scope:SCOPE_DEV
	v_cmpx_eq_u32_e32 0, v2
	s_cbranch_execz .LBB6_328
; %bb.327:                              ;   in Loop: Header=BB6_276 Depth=3
	s_bcnt1_i32_b32 s72, s72
	s_delay_alu instid0(SALU_CYCLE_1)
	v_mov_b32_e32 v2, s72
	s_wait_loadcnt 0x0
	ds_add_u64 v2, v[2:3]
	s_trap 2
.LBB6_328:                              ;   in Loop: Header=BB6_276 Depth=3
	s_or_b32 exec_lo, exec_lo, s45
	s_trap 2
	ds_load_b64 v[14:15], v2
	s_wait_dscnt 0x0
	v_add_nc_u64_e32 v[36:37], v[36:37], v[48:49]
	s_mov_b32 s45, exec_lo
	s_delay_alu instid0(VALU_DEP_1)
	v_cmpx_lt_u64_e64 v[14:15], v[36:37]
	s_cbranch_execz .LBB6_337
; %bb.329:                              ;   in Loop: Header=BB6_276 Depth=3
	s_mov_b32 s72, 0
	s_mov_b32 s75, 0
                                        ; implicit-def: $sgpr73
                                        ; implicit-def: $sgpr74
	s_branch .LBB6_331
.LBB6_330:                              ;   in Loop: Header=BB6_331 Depth=4
	s_or_b32 exec_lo, exec_lo, s77
	s_delay_alu instid0(SALU_CYCLE_1) | instskip(NEXT) | instid1(SALU_CYCLE_1)
	s_and_b32 s76, exec_lo, s78
	s_or_b32 s72, s76, s72
	s_and_not1_b32 s73, s73, exec_lo
	s_and_b32 s76, s74, exec_lo
	s_delay_alu instid0(SALU_CYCLE_1)
	s_or_b32 s73, s73, s76
	s_and_not1_b32 exec_lo, exec_lo, s72
	s_cbranch_execz .LBB6_335
.LBB6_331:                              ;   Parent Loop BB6_47 Depth=1
                                        ;     Parent Loop BB6_273 Depth=2
                                        ;       Parent Loop BB6_276 Depth=3
                                        ; =>      This Inner Loop Header: Depth=4
	s_add_co_i32 s75, s75, 1
	s_delay_alu instid0(SALU_CYCLE_1) | instskip(SKIP_1) | instid1(SALU_CYCLE_1)
	s_cmp_lg_u32 s75, 0x2710
	s_cselect_b32 s76, -1, 0
	s_and_b32 vcc_lo, exec_lo, s76
	s_cbranch_vccz .LBB6_333
; %bb.332:                              ;   in Loop: Header=BB6_331 Depth=4
	s_mov_b32 s78, -1
	s_or_b32 s74, s74, exec_lo
	s_and_saveexec_b32 s77, s76
	s_cbranch_execz .LBB6_330
	s_branch .LBB6_334
.LBB6_333:                              ;   in Loop: Header=BB6_331 Depth=4
	s_trap 2
	ds_load_b64 v[14:15], v2
	s_and_not1_b32 s76, s76, exec_lo
	s_mov_b32 s75, 0
	s_wait_loadcnt_dscnt 0x0
	flat_load_b32 v2, v[14:15] scope:SCOPE_SYS
	s_wait_loadcnt_dscnt 0x0
	global_inv scope:SCOPE_SYS
	v_cmp_eq_u32_e32 vcc_lo, 0, v2
	s_and_b32 s77, vcc_lo, exec_lo
	s_delay_alu instid0(SALU_CYCLE_1)
	s_or_b32 s76, s76, s77
	s_mov_b32 s78, -1
	s_or_b32 s74, s74, exec_lo
	s_and_saveexec_b32 s77, s76
	s_cbranch_execz .LBB6_330
.LBB6_334:                              ;   in Loop: Header=BB6_331 Depth=4
	s_sleep 1
	s_trap 2
	ds_load_b64 v[14:15], v2
	s_wait_dscnt 0x0
	s_and_not1_b32 s74, s74, exec_lo
	v_cmp_ge_u64_e32 vcc_lo, v[14:15], v[36:37]
	s_or_not1_b32 s78, vcc_lo, exec_lo
	s_branch .LBB6_330
.LBB6_335:                              ;   in Loop: Header=BB6_276 Depth=3
	s_or_b32 exec_lo, exec_lo, s72
	s_and_saveexec_b32 s72, s73
	s_delay_alu instid0(SALU_CYCLE_1)
	s_xor_b32 s72, exec_lo, s72
	s_cbranch_execz .LBB6_337
; %bb.336:                              ;   in Loop: Header=BB6_276 Depth=3
	ds_store_b32 v2, v121
	s_trap 2
.LBB6_337:                              ;   in Loop: Header=BB6_276 Depth=3
	s_or_b32 exec_lo, exec_lo, s45
	;;#ASMSTART
	s_wakeup
	;;#ASMEND
.LBB6_338:                              ;   in Loop: Header=BB6_276 Depth=3
	s_or_b32 exec_lo, exec_lo, s44
.LBB6_339:                              ;   in Loop: Header=BB6_276 Depth=3
	s_and_not1_saveexec_b32 s41, s41
	s_cbranch_execz .LBB6_341
; %bb.340:                              ;   in Loop: Header=BB6_276 Depth=3
	global_wb scope:SCOPE_DEV
	s_wait_storecnt 0x0
	s_wait_loadcnt_dscnt 0x0
	global_inv scope:SCOPE_DEV
	s_barrier_signal -1
	s_barrier_wait -1
.LBB6_341:                              ;   in Loop: Header=BB6_276 Depth=3
	s_or_b32 exec_lo, exec_lo, s41
.LBB6_342:                              ;   in Loop: Header=BB6_276 Depth=3
	s_delay_alu instid0(SALU_CYCLE_1)
	s_or_b32 exec_lo, exec_lo, s13
	s_trap 2
	ds_load_b64 v[14:15], v2
	s_wait_dscnt 0x0
	v_cmp_eq_u64_e32 vcc_lo, 0, v[14:15]
	s_cbranch_vccnz .LBB6_350
; %bb.343:                              ;   in Loop: Header=BB6_276 Depth=3
	s_trap 2
	ds_load_b64 v[16:17], v2
	s_wait_dscnt 0x0
	v_cmp_eq_u64_e32 vcc_lo, 0, v[16:17]
	s_cbranch_vccnz .LBB6_350
; %bb.344:                              ;   in Loop: Header=BB6_276 Depth=3
	s_mov_b32 s13, -1
	s_and_saveexec_b32 s41, s11
	s_cbranch_execz .LBB6_346
; %bb.345:                              ;   in Loop: Header=BB6_276 Depth=3
	ds_load_b32 v2, v0 offset:720
	s_wait_dscnt 0x0
	v_and_b32_e32 v2, 15, v2
	s_delay_alu instid0(VALU_DEP_1)
	v_cmp_eq_u32_e32 vcc_lo, 0, v2
	s_or_not1_b32 s13, vcc_lo, exec_lo
.LBB6_346:                              ;   in Loop: Header=BB6_276 Depth=3
	s_or_b32 exec_lo, exec_lo, s41
	s_and_saveexec_b32 s41, s10
	s_cbranch_execz .LBB6_348
; %bb.347:                              ;   in Loop: Header=BB6_276 Depth=3
	ds_load_b32 v2, v0 offset:784
	s_wait_dscnt 0x0
	v_and_b32_e32 v2, 15, v2
	s_delay_alu instid0(VALU_DEP_1) | instskip(SKIP_3) | instid1(SALU_CYCLE_1)
	v_cmp_eq_u32_e32 vcc_lo, 0, v2
	s_and_b32 s44, s13, vcc_lo
	s_and_not1_b32 s13, s13, exec_lo
	s_and_b32 s44, s44, exec_lo
	s_or_b32 s13, s13, s44
.LBB6_348:                              ;   in Loop: Header=BB6_276 Depth=3
	s_or_b32 exec_lo, exec_lo, s41
	v_cmp_eq_u32_e32 vcc_lo, 0, v9
	s_xor_b32 s13, s13, -1
	s_mov_b32 s44, -1
	v_cndmask_b32_e64 v11, 0, 1, s13
	v_cndmask_b32_e32 v2, 0, v8, vcc_lo
	s_delay_alu instid0(VALU_DEP_2) | instskip(NEXT) | instid1(VALU_DEP_2)
	v_cmp_ne_u32_e32 vcc_lo, 0, v11
	v_dual_mov_b32 v11, 0 :: v_dual_lshlrev_b32 v9, 3, v2
	s_cbranch_vccz .LBB6_355
; %bb.349:                              ;   in Loop: Header=BB6_276 Depth=3
	v_dual_mov_b32 v18, v0 :: v_dual_mov_b32 v23, v20
	s_and_saveexec_b32 s13, s44
	s_cbranch_execnz .LBB6_368
	s_branch .LBB6_376
.LBB6_350:                              ;   in Loop: Header=BB6_276 Depth=3
	s_mov_b32 s13, 0
	s_and_saveexec_b32 s41, s2
	s_cbranch_execnz .LBB6_377
.LBB6_351:                              ;   in Loop: Header=BB6_276 Depth=3
	s_or_b32 exec_lo, exec_lo, s41
                                        ; implicit-def: $vgpr2
	s_and_saveexec_b32 s41, s12
	s_delay_alu instid0(SALU_CYCLE_1)
	s_xor_b32 s41, exec_lo, s41
	s_cbranch_execz .LBB6_395
.LBB6_352:                              ;   in Loop: Header=BB6_276 Depth=3
	v_and_b32_e32 v2, 16, v30
	s_delay_alu instid0(VALU_DEP_1) | instskip(SKIP_2) | instid1(SALU_CYCLE_1)
	v_cmp_ne_u32_e32 vcc_lo, 0, v2
	v_and_b32_e32 v2, 16, v30
	s_and_b32 s44, vcc_lo, s13
	s_and_saveexec_b32 s13, s44
	s_cbranch_execz .LBB6_354
; %bb.353:                              ;   in Loop: Header=BB6_276 Depth=3
	v_mov_b32_e32 v2, 1
	global_wb scope:SCOPE_SYS
	s_wait_storecnt 0x0
	s_wait_loadcnt_dscnt 0x0
	global_inv scope:SCOPE_SYS
.LBB6_354:                              ;   in Loop: Header=BB6_276 Depth=3
	s_or_b32 exec_lo, exec_lo, s13
	s_and_not1_saveexec_b32 s13, s41
	s_cbranch_execz .LBB6_414
	s_branch .LBB6_396
.LBB6_355:                              ;   in Loop: Header=BB6_276 Depth=3
	s_delay_alu instid0(VALU_DEP_1) | instskip(SKIP_1) | instid1(VALU_DEP_1)
	v_ashrrev_i32_e32 v11, 31, v9
	s_mov_b32 s13, exec_lo
	v_lshrrev_b32_e32 v11, 21, v11
	s_delay_alu instid0(VALU_DEP_1) | instskip(NEXT) | instid1(VALU_DEP_1)
	v_add_nc_u32_e32 v11, v9, v11
	v_ashrrev_i32_e32 v11, 11, v11
	s_delay_alu instid0(VALU_DEP_1) | instskip(NEXT) | instid1(VALU_DEP_1)
	v_sub_nc_u32_e32 v43, v11, v120
	v_cmpx_lt_i32_e32 0, v43
	s_cbranch_execz .LBB6_359
; %bb.356:                              ;   in Loop: Header=BB6_276 Depth=3
	s_trap 2
	ds_load_b64 v[52:53], v21
	v_add_nc_u64_e32 v[18:19], v[14:15], v[80:81]
	v_add_nc_u64_e32 v[40:41], v[16:17], v[80:81]
	s_mov_b32 s41, 0
	s_wait_dscnt 0x0
	v_add_nc_u64_e32 v[118:119], v[52:53], v[80:81]
.LBB6_357:                              ;   Parent Loop BB6_47 Depth=1
                                        ;     Parent Loop BB6_273 Depth=2
                                        ;       Parent Loop BB6_276 Depth=3
                                        ; =>      This Inner Loop Header: Depth=4
	global_load_b128 v[52:55], v[118:119], off th:TH_LOAD_NT
	s_clause 0x1
	global_load_b128 v[44:47], v[18:19], off th:TH_LOAD_NT
	global_load_b128 v[56:59], v[18:19], off offset:512 th:TH_LOAD_NT
	s_clause 0x1
	global_load_b128 v[60:63], v[118:119], off offset:512 th:TH_LOAD_NT
	global_load_b128 v[72:75], v[118:119], off offset:1024 th:TH_LOAD_NT
	s_clause 0x1
	global_load_b128 v[76:79], v[18:19], off offset:1024 th:TH_LOAD_NT
	global_load_b128 v[88:91], v[18:19], off offset:1536 th:TH_LOAD_NT
	;; [unrolled: 1-line block ×3, first 2 shown]
	v_sub_nc_u32_e32 v43, v43, v48
	s_wait_xcnt 0x1
	v_add_nc_u64_e32 v[18:19], v[18:19], v[82:83]
	s_wait_xcnt 0x0
	v_add_nc_u64_e32 v[118:119], v[118:119], v[82:83]
	v_cmp_gt_i32_e32 vcc_lo, 1, v43
	s_or_b32 s41, vcc_lo, s41
	s_wait_loadcnt 0x6
	v_add_nc_u64_e32 v[52:53], v[52:53], v[44:45]
	v_add_nc_u64_e32 v[54:55], v[54:55], v[46:47]
	s_wait_loadcnt 0x4
	v_add_nc_u64_e32 v[44:45], v[60:61], v[56:57]
	v_add_nc_u64_e32 v[46:47], v[62:63], v[58:59]
	;; [unrolled: 3-line block ×4, first 2 shown]
	s_clause 0x3
	global_store_b128 v[40:41], v[52:55], off th:TH_STORE_NT
	global_store_b128 v[40:41], v[44:47], off offset:512 th:TH_STORE_NT
	global_store_b128 v[40:41], v[56:59], off offset:1024 th:TH_STORE_NT
	global_store_b128 v[40:41], v[60:63], off offset:1536 th:TH_STORE_NT
	s_wait_xcnt 0x0
	v_add_nc_u64_e32 v[40:41], v[40:41], v[82:83]
	s_and_not1_b32 exec_lo, exec_lo, s41
	s_cbranch_execnz .LBB6_357
; %bb.358:                              ;   in Loop: Header=BB6_276 Depth=3
	s_or_b32 exec_lo, exec_lo, s41
.LBB6_359:                              ;   in Loop: Header=BB6_276 Depth=3
	s_delay_alu instid0(SALU_CYCLE_1) | instskip(SKIP_3) | instid1(VALU_DEP_1)
	s_or_b32 exec_lo, exec_lo, s13
	v_dual_mov_b32 v11, 0 :: v_dual_lshlrev_b32 v42, 11, v11
	s_mov_b32 s44, 0
	s_mov_b32 s41, exec_lo
                                        ; implicit-def: $vgpr18
                                        ; implicit-def: $vgpr23
	v_cmpx_ne_u32_e64 v9, v42
	s_cbranch_execz .LBB6_367
; %bb.360:                              ;   in Loop: Header=BB6_276 Depth=3
	v_dual_lshlrev_b32 v11, 5, v43 :: v_dual_sub_nc_u32 v19, v9, v42
	s_mov_b32 s44, exec_lo
	s_delay_alu instid0(VALU_DEP_1) | instskip(NEXT) | instid1(VALU_DEP_2)
	v_sub_nc_u32_e32 v11, v20, v11
	v_ashrrev_i32_e32 v21, 31, v19
	s_delay_alu instid0(VALU_DEP_1) | instskip(NEXT) | instid1(VALU_DEP_1)
	v_dual_ashrrev_i32 v18, 31, v11 :: v_dual_lshrrev_b32 v21, 23, v21
	v_lshrrev_b32_e32 v18, 27, v18
	s_delay_alu instid0(VALU_DEP_1) | instskip(NEXT) | instid1(VALU_DEP_3)
	v_add_nc_u32_e32 v18, v11, v18
	v_add_nc_u32_e32 v21, v19, v21
	s_delay_alu instid0(VALU_DEP_2) | instskip(NEXT) | instid1(VALU_DEP_1)
	v_and_b32_e32 v23, 0xffffffe0, v18
	v_dual_sub_nc_u32 v44, v11, v23 :: v_dual_ashrrev_i32 v23, 5, v18
	s_delay_alu instid0(VALU_DEP_3) | instskip(NEXT) | instid1(VALU_DEP_2)
	v_and_b32_e32 v43, 0xfffffe00, v21
	v_dual_ashrrev_i32 v21, 9, v21 :: v_dual_lshlrev_b32 v11, 4, v44
	s_delay_alu instid0(VALU_DEP_2) | instskip(NEXT) | instid1(VALU_DEP_2)
	v_sub_nc_u32_e32 v45, v19, v43
	v_lshl_add_u32 v18, v23, 9, v11
	s_delay_alu instid0(VALU_DEP_2) | instskip(NEXT) | instid1(VALU_DEP_4)
	v_cmp_lt_i32_e32 vcc_lo, 15, v45
	v_add_co_ci_u32_e64 v21, null, 0, v21, vcc_lo
	s_delay_alu instid0(VALU_DEP_1) | instskip(NEXT) | instid1(VALU_DEP_1)
	v_dual_sub_nc_u32 v11, v19, v18 :: v_dual_sub_nc_u32 v46, v21, v23
	v_cmpx_lt_i32_e32 15, v11
	s_cbranch_execz .LBB6_364
; %bb.361:                              ;   in Loop: Header=BB6_276 Depth=3
	s_trap 2
	ds_load_b64 v[52:53], v21
	v_add_nc_u32_e32 v54, v18, v42
	s_mov_b32 s45, 0
	s_delay_alu instid0(VALU_DEP_1) | instskip(NEXT) | instid1(VALU_DEP_1)
	v_ashrrev_i32_e32 v55, 31, v54
	v_add_nc_u64_e32 v[18:19], v[54:55], v[14:15]
	v_add_nc_u64_e32 v[40:41], v[54:55], v[16:17]
	s_wait_dscnt 0x0
	v_add_nc_u64_e32 v[118:119], v[52:53], v[54:55]
.LBB6_362:                              ;   Parent Loop BB6_47 Depth=1
                                        ;     Parent Loop BB6_273 Depth=2
                                        ;       Parent Loop BB6_276 Depth=3
                                        ; =>      This Inner Loop Header: Depth=4
	global_load_b128 v[52:55], v[18:19], off th:TH_LOAD_NT
	global_load_b128 v[56:59], v[118:119], off th:TH_LOAD_NT
	v_dual_sub_nc_u32 v11, v11, v66 :: v_dual_sub_nc_u32 v46, v46, v48
	s_wait_xcnt 0x1
	v_add_nc_u64_e32 v[18:19], v[18:19], v[66:67]
	s_wait_xcnt 0x0
	v_add_nc_u64_e32 v[118:119], v[118:119], v[66:67]
	v_cmp_gt_i32_e64 s13, 16, v11
	s_or_b32 s45, s13, s45
	s_wait_loadcnt 0x0
	v_add_nc_u64_e32 v[52:53], v[56:57], v[52:53]
	v_add_nc_u64_e32 v[54:55], v[58:59], v[54:55]
	global_store_b128 v[40:41], v[52:55], off th:TH_STORE_NT
	s_wait_xcnt 0x0
	v_add_nc_u64_e32 v[40:41], v[40:41], v[66:67]
	s_and_not1_b32 exec_lo, exec_lo, s45
	s_cbranch_execnz .LBB6_362
; %bb.363:                              ;   in Loop: Header=BB6_276 Depth=3
	s_or_b32 exec_lo, exec_lo, s45
.LBB6_364:                              ;   in Loop: Header=BB6_276 Depth=3
	s_delay_alu instid0(SALU_CYCLE_1) | instskip(SKIP_3) | instid1(VALU_DEP_1)
	s_or_b32 exec_lo, exec_lo, s44
	v_dual_mov_b32 v11, 0 :: v_dual_bitop2_b32 v19, 8, v9 bitop3:0x40
	s_mov_b32 s44, 0
	s_mov_b32 s45, exec_lo
                                        ; implicit-def: $vgpr18
                                        ; implicit-def: $vgpr23
	v_cndmask_b32_e32 v9, v45, v19, vcc_lo
	s_delay_alu instid0(VALU_DEP_1)
	v_cmpx_ne_u32_e32 0, v9
	s_cbranch_execz .LBB6_366
; %bb.365:                              ;   in Loop: Header=BB6_276 Depth=3
	v_cmp_lt_i32_e64 s13, 0, v46
	s_mov_b32 s44, exec_lo
	v_dual_sub_nc_u32 v19, v45, v19 :: v_dual_cndmask_b32 v11, 0, v48, s13
	s_delay_alu instid0(VALU_DEP_1) | instskip(NEXT) | instid1(VALU_DEP_1)
	v_dual_cndmask_b32 v19, 0, v19, vcc_lo :: v_dual_sub_nc_u32 v11, v11, v46
	v_lshl_add_u32 v18, v11, 5, v44
	s_delay_alu instid0(VALU_DEP_1) | instskip(NEXT) | instid1(VALU_DEP_1)
	v_ashrrev_i32_e32 v11, 31, v18
	v_lshrrev_b32_e32 v11, 27, v11
	s_delay_alu instid0(VALU_DEP_1) | instskip(NEXT) | instid1(VALU_DEP_1)
	v_add_nc_u32_e32 v11, v18, v11
	v_and_b32_e32 v21, 0xffffffe0, v11
	v_add3_u32 v11, v43, v42, v19
	s_delay_alu instid0(VALU_DEP_2)
	v_sub_nc_u32_e32 v23, v18, v21
.LBB6_366:                              ;   in Loop: Header=BB6_276 Depth=3
	s_or_b32 exec_lo, exec_lo, s45
	s_delay_alu instid0(SALU_CYCLE_1)
	s_and_b32 s44, s44, exec_lo
.LBB6_367:                              ;   in Loop: Header=BB6_276 Depth=3
	s_or_b32 exec_lo, exec_lo, s41
	s_and_saveexec_b32 s13, s44
	s_cbranch_execz .LBB6_376
.LBB6_368:                              ;   in Loop: Header=BB6_276 Depth=3
	s_delay_alu instid0(VALU_DEP_1) | instskip(SKIP_1) | instid1(VALU_DEP_1)
	v_dual_ashrrev_i32 v19, 31, v18 :: v_dual_ashrrev_i32 v21, 31, v9
	s_mov_b32 s41, exec_lo
	v_dual_lshrrev_b32 v19, 27, v19 :: v_dual_lshrrev_b32 v21, 22, v21
	s_delay_alu instid0(VALU_DEP_1) | instskip(NEXT) | instid1(VALU_DEP_1)
	v_dual_add_nc_u32 v18, v18, v19 :: v_dual_add_nc_u32 v19, v9, v21
	v_dual_ashrrev_i32 v18, 5, v18 :: v_dual_ashrrev_i32 v43, 10, v19
	s_delay_alu instid0(VALU_DEP_1) | instskip(NEXT) | instid1(VALU_DEP_1)
	v_sub_nc_u32_e32 v42, v43, v18
	v_cmpx_lt_i32_e32 0, v42
	s_cbranch_execz .LBB6_372
; %bb.369:                              ;   in Loop: Header=BB6_276 Depth=3
	s_trap 2
	ds_load_b64 v[52:53], v21
	v_dual_lshlrev_b32 v19, 3, v23 :: v_dual_lshlrev_b32 v18, 10, v18
	s_mov_b32 s44, 0
	s_delay_alu instid0(VALU_DEP_1) | instskip(NEXT) | instid1(VALU_DEP_1)
	v_add3_u32 v54, v11, v19, v18
	v_ashrrev_i32_e32 v55, 31, v54
	s_delay_alu instid0(VALU_DEP_1)
	v_add_nc_u64_e32 v[18:19], v[54:55], v[14:15]
	v_add_nc_u64_e32 v[40:41], v[54:55], v[16:17]
	s_wait_dscnt 0x0
	v_add_nc_u64_e32 v[118:119], v[52:53], v[54:55]
.LBB6_370:                              ;   Parent Loop BB6_47 Depth=1
                                        ;     Parent Loop BB6_273 Depth=2
                                        ;       Parent Loop BB6_276 Depth=3
                                        ; =>      This Inner Loop Header: Depth=4
	s_clause 0x3
	flat_load_b64 v[52:53], v[18:19] th:TH_LOAD_NT
	flat_load_b64 v[54:55], v[18:19] offset:256 th:TH_LOAD_NT
	flat_load_b64 v[44:45], v[18:19] offset:512 th:TH_LOAD_NT
	;; [unrolled: 1-line block ×3, first 2 shown]
	s_clause 0x3
	flat_load_b64 v[56:57], v[118:119] th:TH_LOAD_NT
	flat_load_b64 v[58:59], v[118:119] offset:256 th:TH_LOAD_NT
	flat_load_b64 v[60:61], v[118:119] offset:512 th:TH_LOAD_NT
	;; [unrolled: 1-line block ×3, first 2 shown]
	v_sub_nc_u32_e32 v42, v42, v48
	s_wait_xcnt 0x4
	v_add_nc_u64_e32 v[18:19], v[18:19], v[68:69]
	s_wait_xcnt 0x0
	v_add_nc_u64_e32 v[118:119], v[118:119], v[68:69]
	v_cmp_gt_i32_e32 vcc_lo, 1, v42
	s_or_b32 s44, vcc_lo, s44
	s_wait_loadcnt_dscnt 0x303
	v_add_nc_u64_e32 v[52:53], v[56:57], v[52:53]
	s_wait_loadcnt_dscnt 0x202
	v_add_nc_u64_e32 v[54:55], v[58:59], v[54:55]
	s_wait_loadcnt_dscnt 0x101
	v_add_nc_u64_e32 v[44:45], v[60:61], v[44:45]
	s_wait_loadcnt_dscnt 0x0
	v_add_nc_u64_e32 v[46:47], v[62:63], v[46:47]
	s_clause 0x3
	flat_store_b64 v[40:41], v[52:53] th:TH_STORE_NT
	flat_store_b64 v[40:41], v[54:55] offset:256 th:TH_STORE_NT
	flat_store_b64 v[40:41], v[44:45] offset:512 th:TH_STORE_NT
	;; [unrolled: 1-line block ×3, first 2 shown]
	s_wait_xcnt 0x0
	v_add_nc_u64_e32 v[40:41], v[40:41], v[68:69]
	s_and_not1_b32 exec_lo, exec_lo, s44
	s_cbranch_execnz .LBB6_370
; %bb.371:                              ;   in Loop: Header=BB6_276 Depth=3
	s_or_b32 exec_lo, exec_lo, s44
.LBB6_372:                              ;   in Loop: Header=BB6_276 Depth=3
	s_delay_alu instid0(SALU_CYCLE_1) | instskip(SKIP_1) | instid1(VALU_DEP_1)
	s_or_b32 exec_lo, exec_lo, s41
	v_lshlrev_b32_e32 v18, 10, v43
	v_cmp_ne_u32_e32 vcc_lo, v9, v18
	s_and_b32 exec_lo, exec_lo, vcc_lo
	s_cbranch_execz .LBB6_376
; %bb.373:                              ;   in Loop: Header=BB6_276 Depth=3
	v_lshlrev_b32_e32 v19, 5, v42
	s_delay_alu instid0(VALU_DEP_1) | instskip(NEXT) | instid1(VALU_DEP_1)
	v_sub_nc_u32_e32 v19, v23, v19
	v_ashrrev_i32_e32 v21, 31, v19
	s_delay_alu instid0(VALU_DEP_1) | instskip(NEXT) | instid1(VALU_DEP_1)
	v_lshrrev_b32_e32 v21, 27, v21
	v_add_nc_u32_e32 v21, v19, v21
	s_delay_alu instid0(VALU_DEP_1) | instskip(NEXT) | instid1(VALU_DEP_1)
	v_and_b32_e32 v23, 0x1fffffe0, v21
	v_dual_lshlrev_b32 v21, 3, v21 :: v_dual_sub_nc_u32 v19, v19, v23
	s_delay_alu instid0(VALU_DEP_1) | instskip(NEXT) | instid1(VALU_DEP_2)
	v_and_b32_e32 v21, 0xffffff00, v21
	v_lshlrev_b32_e32 v19, 3, v19
	s_delay_alu instid0(VALU_DEP_1) | instskip(NEXT) | instid1(VALU_DEP_1)
	v_add3_u32 v18, v21, v19, v18
	v_sub_nc_u32_e32 v9, v9, v18
	s_delay_alu instid0(VALU_DEP_1)
	v_cmp_lt_i32_e32 vcc_lo, 7, v9
	s_and_b32 exec_lo, exec_lo, vcc_lo
	s_cbranch_execz .LBB6_376
; %bb.374:                              ;   in Loop: Header=BB6_276 Depth=3
	s_trap 2
	ds_load_b64 v[52:53], v11
	v_add_nc_u32_e32 v54, v18, v11
	s_mov_b32 s41, 0
	s_delay_alu instid0(VALU_DEP_1) | instskip(NEXT) | instid1(VALU_DEP_1)
	v_ashrrev_i32_e32 v55, 31, v54
	v_add_nc_u64_e32 v[14:15], v[54:55], v[14:15]
	v_add_nc_u64_e32 v[16:17], v[54:55], v[16:17]
	s_wait_dscnt 0x0
	v_add_nc_u64_e32 v[18:19], v[52:53], v[54:55]
.LBB6_375:                              ;   Parent Loop BB6_47 Depth=1
                                        ;     Parent Loop BB6_273 Depth=2
                                        ;       Parent Loop BB6_276 Depth=3
                                        ; =>      This Inner Loop Header: Depth=4
	flat_load_b64 v[52:53], v[14:15] th:TH_LOAD_NT
	flat_load_b64 v[54:55], v[18:19] th:TH_LOAD_NT
	v_sub_nc_u32_e32 v9, v9, v70
	s_wait_xcnt 0x1
	v_add_nc_u64_e32 v[14:15], v[14:15], v[70:71]
	s_wait_xcnt 0x0
	v_add_nc_u64_e32 v[18:19], v[18:19], v[70:71]
	v_cmp_gt_i32_e32 vcc_lo, 8, v9
	s_or_b32 s41, vcc_lo, s41
	s_wait_loadcnt_dscnt 0x0
	v_add_nc_u64_e32 v[52:53], v[54:55], v[52:53]
	flat_store_b64 v[16:17], v[52:53] th:TH_STORE_NT
	s_wait_xcnt 0x0
	v_add_nc_u64_e32 v[16:17], v[16:17], v[70:71]
	s_and_not1_b32 exec_lo, exec_lo, s41
	s_cbranch_execnz .LBB6_375
.LBB6_376:                              ;   in Loop: Header=BB6_276 Depth=3
	s_or_b32 exec_lo, exec_lo, s13
	v_cmp_lt_i32_e64 s13, 0, v2
	s_and_saveexec_b32 s41, s2
	s_cbranch_execz .LBB6_351
.LBB6_377:                              ;   in Loop: Header=BB6_276 Depth=3
	s_and_saveexec_b32 s44, s3
	s_delay_alu instid0(SALU_CYCLE_1)
	s_xor_b32 s44, exec_lo, s44
	s_cbranch_execz .LBB6_392
; %bb.378:                              ;   in Loop: Header=BB6_276 Depth=3
	s_and_saveexec_b32 s45, s6
	s_cbranch_execz .LBB6_391
; %bb.379:                              ;   in Loop: Header=BB6_276 Depth=3
	s_mov_b32 s73, exec_lo
	s_mov_b32 s72, exec_lo
	v_mbcnt_lo_u32_b32 v2, s73, 0
	global_wb scope:SCOPE_DEV
	s_wait_storecnt 0x0
	s_wait_loadcnt_dscnt 0x0
	global_inv scope:SCOPE_DEV
	v_cmpx_eq_u32_e32 0, v2
	s_cbranch_execz .LBB6_381
; %bb.380:                              ;   in Loop: Header=BB6_276 Depth=3
	s_bcnt1_i32_b32 s73, s73
	s_delay_alu instid0(SALU_CYCLE_1)
	v_mov_b32_e32 v2, s73
	s_wait_loadcnt 0x0
	ds_add_u64 v2, v[2:3]
	s_trap 2
.LBB6_381:                              ;   in Loop: Header=BB6_276 Depth=3
	s_or_b32 exec_lo, exec_lo, s72
	s_trap 2
	ds_load_b64 v[14:15], v2
	s_wait_dscnt 0x0
	v_add_nc_u64_e32 v[36:37], v[36:37], v[48:49]
	s_mov_b32 s72, exec_lo
	s_delay_alu instid0(VALU_DEP_1)
	v_cmpx_lt_u64_e64 v[14:15], v[36:37]
	s_cbranch_execz .LBB6_390
; %bb.382:                              ;   in Loop: Header=BB6_276 Depth=3
	s_mov_b32 s73, 0
	s_mov_b32 s76, 0
                                        ; implicit-def: $sgpr74
                                        ; implicit-def: $sgpr75
	s_branch .LBB6_384
.LBB6_383:                              ;   in Loop: Header=BB6_384 Depth=4
	s_or_b32 exec_lo, exec_lo, s78
	s_delay_alu instid0(SALU_CYCLE_1) | instskip(NEXT) | instid1(SALU_CYCLE_1)
	s_and_b32 s77, exec_lo, s79
	s_or_b32 s73, s77, s73
	s_and_not1_b32 s74, s74, exec_lo
	s_and_b32 s77, s75, exec_lo
	s_delay_alu instid0(SALU_CYCLE_1)
	s_or_b32 s74, s74, s77
	s_and_not1_b32 exec_lo, exec_lo, s73
	s_cbranch_execz .LBB6_388
.LBB6_384:                              ;   Parent Loop BB6_47 Depth=1
                                        ;     Parent Loop BB6_273 Depth=2
                                        ;       Parent Loop BB6_276 Depth=3
                                        ; =>      This Inner Loop Header: Depth=4
	s_add_co_i32 s76, s76, 1
	s_delay_alu instid0(SALU_CYCLE_1) | instskip(SKIP_1) | instid1(SALU_CYCLE_1)
	s_cmp_lg_u32 s76, 0x2710
	s_cselect_b32 s77, -1, 0
	s_and_b32 vcc_lo, exec_lo, s77
	s_cbranch_vccz .LBB6_386
; %bb.385:                              ;   in Loop: Header=BB6_384 Depth=4
	s_mov_b32 s79, -1
	s_or_b32 s75, s75, exec_lo
	s_and_saveexec_b32 s78, s77
	s_cbranch_execz .LBB6_383
	s_branch .LBB6_387
.LBB6_386:                              ;   in Loop: Header=BB6_384 Depth=4
	s_trap 2
	ds_load_b64 v[14:15], v2
	s_and_not1_b32 s77, s77, exec_lo
	s_mov_b32 s76, 0
	s_wait_loadcnt_dscnt 0x0
	flat_load_b32 v2, v[14:15] scope:SCOPE_SYS
	s_wait_loadcnt_dscnt 0x0
	global_inv scope:SCOPE_SYS
	v_cmp_eq_u32_e32 vcc_lo, 0, v2
	s_and_b32 s78, vcc_lo, exec_lo
	s_delay_alu instid0(SALU_CYCLE_1)
	s_or_b32 s77, s77, s78
	s_mov_b32 s79, -1
	s_or_b32 s75, s75, exec_lo
	s_and_saveexec_b32 s78, s77
	s_cbranch_execz .LBB6_383
.LBB6_387:                              ;   in Loop: Header=BB6_384 Depth=4
	s_sleep 1
	s_trap 2
	ds_load_b64 v[14:15], v2
	s_wait_dscnt 0x0
	s_and_not1_b32 s75, s75, exec_lo
	v_cmp_ge_u64_e32 vcc_lo, v[14:15], v[36:37]
	s_or_not1_b32 s79, vcc_lo, exec_lo
	s_branch .LBB6_383
.LBB6_388:                              ;   in Loop: Header=BB6_276 Depth=3
	s_or_b32 exec_lo, exec_lo, s73
	s_and_saveexec_b32 s73, s74
	s_delay_alu instid0(SALU_CYCLE_1)
	s_xor_b32 s73, exec_lo, s73
	s_cbranch_execz .LBB6_390
; %bb.389:                              ;   in Loop: Header=BB6_276 Depth=3
	ds_store_b32 v2, v121
	s_trap 2
.LBB6_390:                              ;   in Loop: Header=BB6_276 Depth=3
	s_or_b32 exec_lo, exec_lo, s72
	;;#ASMSTART
	s_wakeup
	;;#ASMEND
.LBB6_391:                              ;   in Loop: Header=BB6_276 Depth=3
	s_or_b32 exec_lo, exec_lo, s45
.LBB6_392:                              ;   in Loop: Header=BB6_276 Depth=3
	s_and_not1_saveexec_b32 s44, s44
	s_cbranch_execz .LBB6_394
; %bb.393:                              ;   in Loop: Header=BB6_276 Depth=3
	global_wb scope:SCOPE_DEV
	s_wait_storecnt 0x0
	s_wait_loadcnt_dscnt 0x0
	global_inv scope:SCOPE_DEV
	s_barrier_signal -1
	s_barrier_wait -1
.LBB6_394:                              ;   in Loop: Header=BB6_276 Depth=3
	s_or_b32 exec_lo, exec_lo, s44
	s_delay_alu instid0(SALU_CYCLE_1) | instskip(SKIP_1) | instid1(SALU_CYCLE_1)
	s_or_b32 exec_lo, exec_lo, s41
                                        ; implicit-def: $vgpr2
	s_and_saveexec_b32 s41, s12
	s_xor_b32 s41, exec_lo, s41
	s_cbranch_execnz .LBB6_352
.LBB6_395:                              ;   in Loop: Header=BB6_276 Depth=3
	s_and_not1_saveexec_b32 s13, s41
	s_cbranch_execz .LBB6_414
.LBB6_396:                              ;   in Loop: Header=BB6_276 Depth=3
	s_and_saveexec_b32 s41, s3
	s_delay_alu instid0(SALU_CYCLE_1)
	s_xor_b32 s41, exec_lo, s41
	s_cbranch_execz .LBB6_411
; %bb.397:                              ;   in Loop: Header=BB6_276 Depth=3
	s_and_saveexec_b32 s44, s6
	s_cbranch_execz .LBB6_410
; %bb.398:                              ;   in Loop: Header=BB6_276 Depth=3
	s_mov_b32 s72, exec_lo
	s_mov_b32 s45, exec_lo
	v_mbcnt_lo_u32_b32 v2, s72, 0
	;;#ASMSTART
	s_waitcnt lgkmcnt(0) vmcnt(0)
	;;#ASMEND
	s_delay_alu instid0(VALU_DEP_1)
	v_cmpx_eq_u32_e32 0, v2
	s_cbranch_execz .LBB6_400
; %bb.399:                              ;   in Loop: Header=BB6_276 Depth=3
	s_bcnt1_i32_b32 s72, s72
	s_delay_alu instid0(SALU_CYCLE_1)
	v_mov_b32_e32 v2, s72
	s_wait_storecnt 0x0
	s_wait_loadcnt_dscnt 0x0
	ds_add_u64 v2, v[2:3]
	s_trap 2
.LBB6_400:                              ;   in Loop: Header=BB6_276 Depth=3
	s_or_b32 exec_lo, exec_lo, s45
	s_trap 2
	ds_load_b64 v[14:15], v2
	s_wait_dscnt 0x0
	v_add_nc_u64_e32 v[36:37], v[36:37], v[48:49]
	s_mov_b32 s45, exec_lo
	s_delay_alu instid0(VALU_DEP_1)
	v_cmpx_lt_u64_e64 v[14:15], v[36:37]
	s_cbranch_execz .LBB6_409
; %bb.401:                              ;   in Loop: Header=BB6_276 Depth=3
	s_mov_b32 s72, 0
	s_mov_b32 s75, 0
                                        ; implicit-def: $sgpr73
                                        ; implicit-def: $sgpr74
	s_branch .LBB6_403
.LBB6_402:                              ;   in Loop: Header=BB6_403 Depth=4
	s_or_b32 exec_lo, exec_lo, s77
	s_delay_alu instid0(SALU_CYCLE_1) | instskip(NEXT) | instid1(SALU_CYCLE_1)
	s_and_b32 s76, exec_lo, s78
	s_or_b32 s72, s76, s72
	s_and_not1_b32 s73, s73, exec_lo
	s_and_b32 s76, s74, exec_lo
	s_delay_alu instid0(SALU_CYCLE_1)
	s_or_b32 s73, s73, s76
	s_and_not1_b32 exec_lo, exec_lo, s72
	s_cbranch_execz .LBB6_407
.LBB6_403:                              ;   Parent Loop BB6_47 Depth=1
                                        ;     Parent Loop BB6_273 Depth=2
                                        ;       Parent Loop BB6_276 Depth=3
                                        ; =>      This Inner Loop Header: Depth=4
	s_add_co_i32 s75, s75, 1
	s_delay_alu instid0(SALU_CYCLE_1) | instskip(SKIP_1) | instid1(SALU_CYCLE_1)
	s_cmp_lg_u32 s75, 0x2710
	s_cselect_b32 s76, -1, 0
	s_and_b32 vcc_lo, exec_lo, s76
	s_cbranch_vccz .LBB6_405
; %bb.404:                              ;   in Loop: Header=BB6_403 Depth=4
	s_mov_b32 s78, -1
	s_or_b32 s74, s74, exec_lo
	s_and_saveexec_b32 s77, s76
	s_cbranch_execz .LBB6_402
	s_branch .LBB6_406
.LBB6_405:                              ;   in Loop: Header=BB6_403 Depth=4
	s_trap 2
	ds_load_b64 v[14:15], v2
	s_and_not1_b32 s76, s76, exec_lo
	s_mov_b32 s75, 0
	s_wait_storecnt 0x0
	s_wait_loadcnt_dscnt 0x0
	flat_load_b32 v2, v[14:15] scope:SCOPE_SYS
	s_wait_loadcnt_dscnt 0x0
	global_inv scope:SCOPE_SYS
	v_cmp_eq_u32_e32 vcc_lo, 0, v2
	s_and_b32 s77, vcc_lo, exec_lo
	s_delay_alu instid0(SALU_CYCLE_1)
	s_or_b32 s76, s76, s77
	s_mov_b32 s78, -1
	s_or_b32 s74, s74, exec_lo
	s_and_saveexec_b32 s77, s76
	s_cbranch_execz .LBB6_402
.LBB6_406:                              ;   in Loop: Header=BB6_403 Depth=4
	s_sleep 1
	s_trap 2
	ds_load_b64 v[14:15], v2
	s_wait_dscnt 0x0
	s_and_not1_b32 s74, s74, exec_lo
	v_cmp_ge_u64_e32 vcc_lo, v[14:15], v[36:37]
	s_or_not1_b32 s78, vcc_lo, exec_lo
	s_branch .LBB6_402
.LBB6_407:                              ;   in Loop: Header=BB6_276 Depth=3
	s_or_b32 exec_lo, exec_lo, s72
	s_and_saveexec_b32 s72, s73
	s_delay_alu instid0(SALU_CYCLE_1)
	s_xor_b32 s72, exec_lo, s72
	s_cbranch_execz .LBB6_409
; %bb.408:                              ;   in Loop: Header=BB6_276 Depth=3
	ds_store_b32 v2, v121
	s_trap 2
.LBB6_409:                              ;   in Loop: Header=BB6_276 Depth=3
	s_or_b32 exec_lo, exec_lo, s45
	;;#ASMSTART
	s_wakeup
	;;#ASMEND
.LBB6_410:                              ;   in Loop: Header=BB6_276 Depth=3
	s_or_b32 exec_lo, exec_lo, s44
.LBB6_411:                              ;   in Loop: Header=BB6_276 Depth=3
	s_and_not1_saveexec_b32 s41, s41
	s_cbranch_execz .LBB6_413
; %bb.412:                              ;   in Loop: Header=BB6_276 Depth=3
	;;#ASMSTART
	s_waitcnt lgkmcnt(0) vmcnt(0)
	;;#ASMEND
	s_barrier_signal -1
	s_barrier_wait -1
.LBB6_413:                              ;   in Loop: Header=BB6_276 Depth=3
	s_or_b32 exec_lo, exec_lo, s41
	v_and_b32_e32 v2, 16, v30
.LBB6_414:                              ;   in Loop: Header=BB6_276 Depth=3
	s_or_b32 exec_lo, exec_lo, s13
	s_delay_alu instid0(VALU_DEP_1) | instskip(SKIP_1) | instid1(SALU_CYCLE_1)
	v_cmp_ne_u32_e32 vcc_lo, 0, v2
	s_xor_b32 s13, s4, -1
	s_and_b32 s41, vcc_lo, s13
	s_delay_alu instid0(SALU_CYCLE_1)
	s_and_saveexec_b32 s13, s41
	s_cbranch_execz .LBB6_416
; %bb.415:                              ;   in Loop: Header=BB6_276 Depth=3
	global_wb scope:SCOPE_SYS
	s_wait_storecnt 0x0
	s_wait_loadcnt_dscnt 0x0
	flat_store_b32 v[34:35], v121 scope:SCOPE_SYS
.LBB6_416:                              ;   in Loop: Header=BB6_276 Depth=3
	s_wait_xcnt 0x0
	s_or_b32 exec_lo, exec_lo, s13
	v_and_b32_e32 v2, 48, v30
	s_mov_b32 s13, exec_lo
	s_delay_alu instid0(VALU_DEP_1)
	v_cmpx_ne_u32_e32 0, v2
	s_cbranch_execz .LBB6_275
; %bb.417:                              ;   in Loop: Header=BB6_276 Depth=3
	v_add_nc_u64_e32 v[112:113], 2, v[112:113]
	global_wb scope:SCOPE_SYS
	s_wait_storecnt 0x0
	s_wait_loadcnt_dscnt 0x0
	flat_store_b64 v[26:27], v[112:113] scope:SCOPE_SYS
	s_branch .LBB6_275
.LBB6_418:                              ;   in Loop: Header=BB6_273 Depth=2
	s_or_b32 exec_lo, exec_lo, s16
.LBB6_419:                              ;   in Loop: Header=BB6_273 Depth=2
	s_delay_alu instid0(SALU_CYCLE_1) | instskip(NEXT) | instid1(SALU_CYCLE_1)
	s_or_b32 exec_lo, exec_lo, s15
	s_mov_b32 s15, exec_lo
	v_cmpx_gt_i32_e32 2, v2
	s_cbranch_execz .LBB6_272
; %bb.420:                              ;   in Loop: Header=BB6_273 Depth=2
	v_cmp_eq_u32_e64 s17, 0, v2
	s_mov_b32 s16, 0
	s_branch .LBB6_422
.LBB6_421:                              ;   in Loop: Header=BB6_422 Depth=3
	s_wait_xcnt 0x0
	s_or_b32 exec_lo, exec_lo, s13
	v_add_nc_u32_e32 v10, v8, v10
	s_mov_b32 s17, 0
	s_and_not1_b32 exec_lo, exec_lo, s16
	s_cbranch_execz .LBB6_271
.LBB6_422:                              ;   Parent Loop BB6_47 Depth=1
                                        ;     Parent Loop BB6_273 Depth=2
                                        ; =>    This Loop Header: Depth=3
                                        ;         Child Loop BB6_428 Depth 4
                                        ;         Child Loop BB6_456 Depth 4
	;; [unrolled: 1-line block ×3, first 2 shown]
	s_delay_alu instid0(VALU_DEP_1) | instskip(SKIP_2) | instid1(VALU_DEP_2)
	v_sub_nc_u32_e32 v2, v22, v10
	v_and_b32_e32 v9, 12, v30
	s_mov_b32 s20, exec_lo
	v_min_i32_e32 v8, v8, v2
	s_delay_alu instid0(VALU_DEP_2)
	v_cmpx_ne_u32_e32 0, v9
	s_cbranch_execz .LBB6_448
; %bb.423:                              ;   in Loop: Header=BB6_422 Depth=3
	v_and_b32_e32 v2, 8, v30
	v_add_nc_u64_e32 v[12:13], 2, v[112:113]
	s_mov_b32 s41, exec_lo
	s_wait_loadcnt_dscnt 0x1
	s_delay_alu instid0(VALU_DEP_2) | instskip(NEXT) | instid1(VALU_DEP_1)
	v_add_nc_u64_e32 v[14:15], v[38:39], v[2:3]
	v_cmpx_lt_u64_e64 v[14:15], v[12:13]
	s_cbranch_execz .LBB6_435
; %bb.424:                              ;   in Loop: Header=BB6_422 Depth=3
	v_and_b32_e32 v9, 64, v30
	s_mov_b32 s44, 0
	s_mov_b32 s74, 0
                                        ; implicit-def: $sgpr45
                                        ; implicit-def: $sgpr72
                                        ; implicit-def: $sgpr73
	s_delay_alu instid0(VALU_DEP_1)
	v_cmp_eq_u32_e32 vcc_lo, 0, v9
	s_branch .LBB6_428
.LBB6_425:                              ;   in Loop: Header=BB6_428 Depth=4
	s_wait_loadcnt_dscnt 0x0
	v_add_nc_u64_e32 v[14:15], v[38:39], v[2:3]
	s_or_b32 s77, s77, exec_lo
	s_delay_alu instid0(VALU_DEP_1)
	v_cmp_ge_u64_e64 s13, v[14:15], v[12:13]
	s_or_not1_b32 s76, s13, exec_lo
.LBB6_426:                              ;   in Loop: Header=BB6_428 Depth=4
	s_or_b32 exec_lo, exec_lo, s79
	s_delay_alu instid0(SALU_CYCLE_1)
	s_and_not1_b32 s13, s73, exec_lo
	s_and_b32 s73, s77, exec_lo
	s_and_not1_b32 s72, s72, exec_lo
	s_and_b32 s76, s76, exec_lo
	s_or_b32 s73, s13, s73
	s_or_b32 s72, s72, s76
.LBB6_427:                              ;   in Loop: Header=BB6_428 Depth=4
	s_or_b32 exec_lo, exec_lo, s75
	s_delay_alu instid0(SALU_CYCLE_1) | instskip(NEXT) | instid1(SALU_CYCLE_1)
	s_and_b32 s13, exec_lo, s72
	s_or_b32 s44, s13, s44
	s_and_not1_b32 s13, s45, exec_lo
	s_and_b32 s45, s73, exec_lo
	s_delay_alu instid0(SALU_CYCLE_1)
	s_or_b32 s45, s13, s45
	s_and_not1_b32 exec_lo, exec_lo, s44
	s_cbranch_execz .LBB6_432
.LBB6_428:                              ;   Parent Loop BB6_47 Depth=1
                                        ;     Parent Loop BB6_273 Depth=2
                                        ;       Parent Loop BB6_422 Depth=3
                                        ; =>      This Inner Loop Header: Depth=4
	s_sleep 1
	s_wait_loadcnt_dscnt 0x0
	flat_load_b64 v[38:39], v[26:27] scope:SCOPE_SYS
	s_or_b32 s73, s73, exec_lo
	s_or_b32 s72, s72, exec_lo
                                        ; implicit-def: $vgpr9
	s_wait_xcnt 0x0
	s_and_saveexec_b32 s75, vcc_lo
	s_cbranch_execz .LBB6_427
; %bb.429:                              ;   in Loop: Header=BB6_428 Depth=4
	s_cmp_lt_i32 s74, 0x270f
	s_mov_b32 s76, -1
	s_cselect_b32 s78, -1, 0
	s_cmp_gt_i32 s74, 0x270e
	s_cbranch_scc0 .LBB6_431
; %bb.430:                              ;   in Loop: Header=BB6_428 Depth=4
	s_trap 2
	ds_load_b64 v[14:15], v11
	s_and_not1_b32 s74, s78, exec_lo
	s_mov_b32 s77, 0
	s_wait_storecnt 0x0
	s_wait_loadcnt_dscnt 0x0
	flat_load_b32 v9, v[14:15] scope:SCOPE_SYS
	s_wait_loadcnt_dscnt 0x0
	global_inv scope:SCOPE_SYS
	v_cmp_eq_u32_e64 s13, 0, v9
	s_and_b32 s13, s13, exec_lo
	s_delay_alu instid0(SALU_CYCLE_1)
	s_or_b32 s78, s74, s13
	s_mov_b32 s74, 0
	s_and_saveexec_b32 s79, s78
	s_cbranch_execz .LBB6_426
	s_branch .LBB6_425
.LBB6_431:                              ;   in Loop: Header=BB6_428 Depth=4
	s_add_co_i32 s74, s74, 1
	s_mov_b32 s77, -1
                                        ; implicit-def: $vgpr9
	s_and_saveexec_b32 s79, s78
	s_cbranch_execz .LBB6_426
	s_branch .LBB6_425
.LBB6_432:                              ;   in Loop: Header=BB6_422 Depth=3
	s_or_b32 exec_lo, exec_lo, s44
	s_xor_b32 s13, s45, -1
	s_delay_alu instid0(SALU_CYCLE_1) | instskip(NEXT) | instid1(SALU_CYCLE_1)
	s_and_saveexec_b32 s44, s13
	s_xor_b32 s13, exec_lo, s44
	s_cbranch_execz .LBB6_434
; %bb.433:                              ;   in Loop: Header=BB6_422 Depth=3
	v_or_b32_e32 v30, 64, v30
	s_wait_storecnt 0x0
	s_wait_loadcnt_dscnt 0x0
	ds_store_b32 v11, v9
	s_trap 2
.LBB6_434:                              ;   in Loop: Header=BB6_422 Depth=3
	s_or_b32 exec_lo, exec_lo, s13
.LBB6_435:                              ;   in Loop: Header=BB6_422 Depth=3
	s_delay_alu instid0(SALU_CYCLE_1) | instskip(SKIP_3) | instid1(VALU_DEP_1)
	s_or_b32 exec_lo, exec_lo, s41
	v_and_b32_e32 v9, 0x108, v30
	s_mov_b32 s13, exec_lo
	;;#ASMSTART
	s_wakeup
	;;#ASMEND
                                        ; implicit-def: $vgpr14_vgpr15
	v_cmpx_ne_u32_e32 0x108, v9
	s_xor_b32 s13, exec_lo, s13
; %bb.436:                              ;   in Loop: Header=BB6_422 Depth=3
	v_dual_mov_b32 v15, v3 :: v_dual_bitop2_b32 v14, 7, v112 bitop3:0x40
                                        ; implicit-def: $vgpr112_vgpr113
; %bb.437:                              ;   in Loop: Header=BB6_422 Depth=3
	s_and_not1_saveexec_b32 s13, s13
	s_cbranch_execz .LBB6_439
; %bb.438:                              ;   in Loop: Header=BB6_422 Depth=3
	v_dual_mov_b32 v15, v3 :: v_dual_bitop2_b32 v14, 7, v112 bitop3:0x40
	v_ashrrev_i32_e32 v9, 31, v8
	s_delay_alu instid0(VALU_DEP_2) | instskip(NEXT) | instid1(VALU_DEP_2)
	v_mad_nc_u64_u32 v[16:17], v14, 24, v[6:7]
	v_lshlrev_b64_e32 v[18:19], 3, v[8:9]
	flat_store_b64 v[16:17], v[18:19] offset:8
.LBB6_439:                              ;   in Loop: Header=BB6_422 Depth=3
	s_wait_xcnt 0x0
	s_or_b32 exec_lo, exec_lo, s13
	v_and_b32_e32 v9, 0x100, v30
	s_mov_b32 s13, -1
	s_mov_b32 s41, exec_lo
                                        ; implicit-def: $vgpr16_vgpr17
	s_delay_alu instid0(VALU_DEP_1)
	v_cmpx_ne_u32_e32 0, v9
	s_cbranch_execz .LBB6_443
; %bb.440:                              ;   in Loop: Header=BB6_422 Depth=3
	v_mad_nc_u64_u32 v[18:19], v14, 24, v[6:7]
	s_mov_b32 s44, exec_lo
                                        ; implicit-def: $vgpr16_vgpr17
	s_delay_alu instid0(VALU_DEP_1)
	v_mad_u32 v19, v15, 24, v19
	flat_load_b32 v9, v[18:19]
	s_wait_loadcnt_dscnt 0x0
	v_cmp_ne_u32_e32 vcc_lo, 1, v9
	s_wait_xcnt 0x0
	v_cmpx_eq_u32_e32 1, v9
	s_cbranch_execz .LBB6_442
; %bb.441:                              ;   in Loop: Header=BB6_422 Depth=3
	flat_load_b32 v16, v[18:19] offset:4 scope:SCOPE_SYS
	s_wait_loadcnt_dscnt 0x0
	v_ashrrev_i32_e32 v17, 31, v16
	s_delay_alu instid0(VALU_DEP_1)
	v_lshrrev_b64 v[16:17], 3, v[16:17]
.LBB6_442:                              ;   in Loop: Header=BB6_422 Depth=3
	s_wait_xcnt 0x0
	s_or_b32 exec_lo, exec_lo, s44
	s_delay_alu instid0(SALU_CYCLE_1)
	s_or_not1_b32 s13, vcc_lo, exec_lo
.LBB6_443:                              ;   in Loop: Header=BB6_422 Depth=3
	s_or_b32 exec_lo, exec_lo, s41
	s_and_saveexec_b32 s41, s13
; %bb.444:                              ;   in Loop: Header=BB6_422 Depth=3
	v_mul_u64_e32 v[16:17], v[14:15], v[28:29]
; %bb.445:                              ;   in Loop: Header=BB6_422 Depth=3
	s_or_b32 exec_lo, exec_lo, s41
	v_cmp_eq_u32_e32 vcc_lo, 0, v2
	v_and_b32_e32 v9, 0x2000, v30
	s_delay_alu instid0(VALU_DEP_3) | instskip(SKIP_2) | instid1(VALU_DEP_1)
	v_lshl_add_u64 v[14:15], v[16:17], 3, v[32:33]
	s_mov_b32 s13, exec_lo
	v_cndmask_b32_e32 v2, 0xc8, v122, vcc_lo
	v_add_nc_u32_e32 v2, v0, v2
	ds_store_b64 v2, v[14:15] offset:584
	v_cmpx_ne_u32_e32 0, v9
	s_cbranch_execz .LBB6_447
; %bb.446:                              ;   in Loop: Header=BB6_422 Depth=3
	ds_load_b64 v[14:15], v0 offset:872
	s_wait_dscnt 0x0
	v_add_nc_u64_e32 v[14:15], 1, v[14:15]
	ds_store_b64 v0, v[14:15] offset:872
.LBB6_447:                              ;   in Loop: Header=BB6_422 Depth=3
	s_or_b32 exec_lo, exec_lo, s13
	v_mov_b64_e32 v[112:113], v[12:13]
.LBB6_448:                              ;   in Loop: Header=BB6_422 Depth=3
	s_or_b32 exec_lo, exec_lo, s20
	s_xor_b32 s13, s17, -1
	s_delay_alu instid0(SALU_CYCLE_1) | instskip(NEXT) | instid1(SALU_CYCLE_1)
	s_and_b32 s13, exec_lo, s13
	s_or_b32 s16, s13, s16
	s_and_saveexec_b32 s13, s2
	s_cbranch_execz .LBB6_467
; %bb.449:                              ;   in Loop: Header=BB6_422 Depth=3
	s_and_saveexec_b32 s17, s3
	s_delay_alu instid0(SALU_CYCLE_1)
	s_xor_b32 s17, exec_lo, s17
	s_cbranch_execz .LBB6_464
; %bb.450:                              ;   in Loop: Header=BB6_422 Depth=3
	s_and_saveexec_b32 s20, s6
	s_cbranch_execz .LBB6_463
; %bb.451:                              ;   in Loop: Header=BB6_422 Depth=3
	s_mov_b32 s44, exec_lo
	s_mov_b32 s41, exec_lo
	v_mbcnt_lo_u32_b32 v2, s44, 0
	global_wb scope:SCOPE_DEV
	s_wait_storecnt 0x0
	s_wait_loadcnt_dscnt 0x0
	global_inv scope:SCOPE_DEV
	v_cmpx_eq_u32_e32 0, v2
	s_cbranch_execz .LBB6_453
; %bb.452:                              ;   in Loop: Header=BB6_422 Depth=3
	s_bcnt1_i32_b32 s44, s44
	s_delay_alu instid0(SALU_CYCLE_1)
	v_mov_b32_e32 v2, s44
	s_wait_loadcnt 0x0
	ds_add_u64 v2, v[2:3]
	s_trap 2
.LBB6_453:                              ;   in Loop: Header=BB6_422 Depth=3
	s_or_b32 exec_lo, exec_lo, s41
	s_trap 2
	ds_load_b64 v[12:13], v2
	s_wait_dscnt 0x0
	v_add_nc_u64_e32 v[36:37], v[36:37], v[48:49]
	s_mov_b32 s41, exec_lo
	s_delay_alu instid0(VALU_DEP_1)
	v_cmpx_lt_u64_e64 v[12:13], v[36:37]
	s_cbranch_execz .LBB6_462
; %bb.454:                              ;   in Loop: Header=BB6_422 Depth=3
	s_mov_b32 s44, 0
	s_mov_b32 s73, 0
                                        ; implicit-def: $sgpr45
                                        ; implicit-def: $sgpr72
	s_branch .LBB6_456
.LBB6_455:                              ;   in Loop: Header=BB6_456 Depth=4
	s_or_b32 exec_lo, exec_lo, s75
	s_delay_alu instid0(SALU_CYCLE_1) | instskip(NEXT) | instid1(SALU_CYCLE_1)
	s_and_b32 s74, exec_lo, s76
	s_or_b32 s44, s74, s44
	s_and_not1_b32 s45, s45, exec_lo
	s_and_b32 s74, s72, exec_lo
	s_delay_alu instid0(SALU_CYCLE_1)
	s_or_b32 s45, s45, s74
	s_and_not1_b32 exec_lo, exec_lo, s44
	s_cbranch_execz .LBB6_460
.LBB6_456:                              ;   Parent Loop BB6_47 Depth=1
                                        ;     Parent Loop BB6_273 Depth=2
                                        ;       Parent Loop BB6_422 Depth=3
                                        ; =>      This Inner Loop Header: Depth=4
	s_add_co_i32 s73, s73, 1
	s_delay_alu instid0(SALU_CYCLE_1) | instskip(SKIP_1) | instid1(SALU_CYCLE_1)
	s_cmp_lg_u32 s73, 0x2710
	s_cselect_b32 s74, -1, 0
	s_and_b32 vcc_lo, exec_lo, s74
	s_cbranch_vccz .LBB6_458
; %bb.457:                              ;   in Loop: Header=BB6_456 Depth=4
	s_mov_b32 s76, -1
	s_or_b32 s72, s72, exec_lo
	s_and_saveexec_b32 s75, s74
	s_cbranch_execz .LBB6_455
	s_branch .LBB6_459
.LBB6_458:                              ;   in Loop: Header=BB6_456 Depth=4
	s_trap 2
	ds_load_b64 v[12:13], v2
	s_and_not1_b32 s74, s74, exec_lo
	s_mov_b32 s73, 0
	s_wait_loadcnt_dscnt 0x0
	flat_load_b32 v2, v[12:13] scope:SCOPE_SYS
	s_wait_loadcnt_dscnt 0x0
	global_inv scope:SCOPE_SYS
	v_cmp_eq_u32_e32 vcc_lo, 0, v2
	s_and_b32 s75, vcc_lo, exec_lo
	s_delay_alu instid0(SALU_CYCLE_1)
	s_or_b32 s74, s74, s75
	s_mov_b32 s76, -1
	s_or_b32 s72, s72, exec_lo
	s_and_saveexec_b32 s75, s74
	s_cbranch_execz .LBB6_455
.LBB6_459:                              ;   in Loop: Header=BB6_456 Depth=4
	s_sleep 1
	s_trap 2
	ds_load_b64 v[12:13], v2
	s_wait_dscnt 0x0
	s_and_not1_b32 s72, s72, exec_lo
	v_cmp_ge_u64_e32 vcc_lo, v[12:13], v[36:37]
	s_or_not1_b32 s76, vcc_lo, exec_lo
	s_branch .LBB6_455
.LBB6_460:                              ;   in Loop: Header=BB6_422 Depth=3
	s_or_b32 exec_lo, exec_lo, s44
	s_and_saveexec_b32 s44, s45
	s_delay_alu instid0(SALU_CYCLE_1)
	s_xor_b32 s44, exec_lo, s44
	s_cbranch_execz .LBB6_462
; %bb.461:                              ;   in Loop: Header=BB6_422 Depth=3
	ds_store_b32 v2, v121
	s_trap 2
.LBB6_462:                              ;   in Loop: Header=BB6_422 Depth=3
	s_or_b32 exec_lo, exec_lo, s41
	;;#ASMSTART
	s_wakeup
	;;#ASMEND
.LBB6_463:                              ;   in Loop: Header=BB6_422 Depth=3
	s_or_b32 exec_lo, exec_lo, s20
.LBB6_464:                              ;   in Loop: Header=BB6_422 Depth=3
	s_and_not1_saveexec_b32 s17, s17
	s_cbranch_execz .LBB6_466
; %bb.465:                              ;   in Loop: Header=BB6_422 Depth=3
	global_wb scope:SCOPE_DEV
	s_wait_storecnt 0x0
	s_wait_loadcnt_dscnt 0x0
	global_inv scope:SCOPE_DEV
	s_barrier_signal -1
	s_barrier_wait -1
.LBB6_466:                              ;   in Loop: Header=BB6_422 Depth=3
	s_or_b32 exec_lo, exec_lo, s17
.LBB6_467:                              ;   in Loop: Header=BB6_422 Depth=3
	s_delay_alu instid0(SALU_CYCLE_1) | instskip(SKIP_1) | instid1(SALU_CYCLE_1)
	s_or_b32 exec_lo, exec_lo, s13
                                        ; implicit-def: $vgpr2
	s_and_saveexec_b32 s13, s59
	s_xor_b32 s13, exec_lo, s13
	s_cbranch_execz .LBB6_479
; %bb.468:                              ;   in Loop: Header=BB6_422 Depth=3
	s_and_saveexec_b32 s17, s3
	s_delay_alu instid0(SALU_CYCLE_1)
	s_xor_b32 s17, exec_lo, s17
	s_cbranch_execz .LBB6_484
; %bb.469:                              ;   in Loop: Header=BB6_422 Depth=3
	s_and_saveexec_b32 s20, s6
	s_cbranch_execz .LBB6_483
; %bb.470:                              ;   in Loop: Header=BB6_422 Depth=3
	s_mov_b32 s44, exec_lo
	s_mov_b32 s41, exec_lo
	v_mbcnt_lo_u32_b32 v2, s44, 0
	;;#ASMSTART
	s_waitcnt lgkmcnt(0) vmcnt(0)
	;;#ASMEND
	s_delay_alu instid0(VALU_DEP_1)
	v_cmpx_eq_u32_e32 0, v2
	s_cbranch_execz .LBB6_472
; %bb.471:                              ;   in Loop: Header=BB6_422 Depth=3
	s_bcnt1_i32_b32 s44, s44
	s_delay_alu instid0(SALU_CYCLE_1)
	v_mov_b32_e32 v2, s44
	s_wait_storecnt 0x0
	s_wait_loadcnt_dscnt 0x0
	ds_add_u64 v2, v[2:3]
	s_trap 2
.LBB6_472:                              ;   in Loop: Header=BB6_422 Depth=3
	s_or_b32 exec_lo, exec_lo, s41
	s_trap 2
	ds_load_b64 v[12:13], v2
	s_wait_dscnt 0x0
	v_add_nc_u64_e32 v[36:37], v[36:37], v[48:49]
	s_mov_b32 s41, exec_lo
	s_delay_alu instid0(VALU_DEP_1)
	v_cmpx_lt_u64_e64 v[12:13], v[36:37]
	s_cbranch_execz .LBB6_482
; %bb.473:                              ;   in Loop: Header=BB6_422 Depth=3
	s_mov_b32 s44, 0
	s_mov_b32 s73, 0
                                        ; implicit-def: $sgpr45
                                        ; implicit-def: $sgpr72
	s_branch .LBB6_475
.LBB6_474:                              ;   in Loop: Header=BB6_475 Depth=4
	s_or_b32 exec_lo, exec_lo, s75
	s_delay_alu instid0(SALU_CYCLE_1) | instskip(NEXT) | instid1(SALU_CYCLE_1)
	s_and_b32 s74, exec_lo, s76
	s_or_b32 s44, s74, s44
	s_and_not1_b32 s45, s45, exec_lo
	s_and_b32 s74, s72, exec_lo
	s_delay_alu instid0(SALU_CYCLE_1)
	s_or_b32 s45, s45, s74
	s_and_not1_b32 exec_lo, exec_lo, s44
	s_cbranch_execz .LBB6_480
.LBB6_475:                              ;   Parent Loop BB6_47 Depth=1
                                        ;     Parent Loop BB6_273 Depth=2
                                        ;       Parent Loop BB6_422 Depth=3
                                        ; =>      This Inner Loop Header: Depth=4
	s_add_co_i32 s73, s73, 1
	s_delay_alu instid0(SALU_CYCLE_1) | instskip(SKIP_1) | instid1(SALU_CYCLE_1)
	s_cmp_lg_u32 s73, 0x2710
	s_cselect_b32 s74, -1, 0
	s_and_b32 vcc_lo, exec_lo, s74
	s_cbranch_vccz .LBB6_477
; %bb.476:                              ;   in Loop: Header=BB6_475 Depth=4
	s_mov_b32 s76, -1
	s_or_b32 s72, s72, exec_lo
	s_and_saveexec_b32 s75, s74
	s_cbranch_execz .LBB6_474
	s_branch .LBB6_478
.LBB6_477:                              ;   in Loop: Header=BB6_475 Depth=4
	s_trap 2
	ds_load_b64 v[12:13], v2
	s_and_not1_b32 s74, s74, exec_lo
	s_mov_b32 s73, 0
	s_wait_storecnt 0x0
	s_wait_loadcnt_dscnt 0x0
	flat_load_b32 v2, v[12:13] scope:SCOPE_SYS
	s_wait_loadcnt_dscnt 0x0
	global_inv scope:SCOPE_SYS
	v_cmp_eq_u32_e32 vcc_lo, 0, v2
	s_and_b32 s75, vcc_lo, exec_lo
	s_delay_alu instid0(SALU_CYCLE_1)
	s_or_b32 s74, s74, s75
	s_mov_b32 s76, -1
	s_or_b32 s72, s72, exec_lo
	s_and_saveexec_b32 s75, s74
	s_cbranch_execz .LBB6_474
.LBB6_478:                              ;   in Loop: Header=BB6_475 Depth=4
	s_sleep 1
	s_trap 2
	ds_load_b64 v[12:13], v2
	s_wait_dscnt 0x0
	s_and_not1_b32 s72, s72, exec_lo
	v_cmp_ge_u64_e32 vcc_lo, v[12:13], v[36:37]
	s_or_not1_b32 s76, vcc_lo, exec_lo
	s_branch .LBB6_474
.LBB6_479:                              ;   in Loop: Header=BB6_422 Depth=3
	s_and_not1_saveexec_b32 s17, s13
	s_cbranch_execnz .LBB6_487
	s_branch .LBB6_490
.LBB6_480:                              ;   in Loop: Header=BB6_422 Depth=3
	s_or_b32 exec_lo, exec_lo, s44
	s_and_saveexec_b32 s44, s45
	s_delay_alu instid0(SALU_CYCLE_1)
	s_xor_b32 s44, exec_lo, s44
	s_cbranch_execz .LBB6_482
; %bb.481:                              ;   in Loop: Header=BB6_422 Depth=3
	ds_store_b32 v2, v121
	s_trap 2
.LBB6_482:                              ;   in Loop: Header=BB6_422 Depth=3
	s_or_b32 exec_lo, exec_lo, s41
	;;#ASMSTART
	s_wakeup
	;;#ASMEND
.LBB6_483:                              ;   in Loop: Header=BB6_422 Depth=3
	s_or_b32 exec_lo, exec_lo, s20
.LBB6_484:                              ;   in Loop: Header=BB6_422 Depth=3
	s_and_not1_saveexec_b32 s17, s17
	s_cbranch_execz .LBB6_486
; %bb.485:                              ;   in Loop: Header=BB6_422 Depth=3
	;;#ASMSTART
	s_waitcnt lgkmcnt(0) vmcnt(0)
	;;#ASMEND
	s_barrier_signal -1
	s_barrier_wait -1
.LBB6_486:                              ;   in Loop: Header=BB6_422 Depth=3
	s_or_b32 exec_lo, exec_lo, s17
	v_and_b32_e32 v2, 16, v30
	s_and_not1_saveexec_b32 s17, s13
	s_cbranch_execz .LBB6_490
.LBB6_487:                              ;   in Loop: Header=BB6_422 Depth=3
	s_trap 2
	ds_load_b32 v2, v9
	v_cmp_lt_i32_e32 vcc_lo, 0, v8
	s_wait_dscnt 0x0
	v_readfirstlane_b32 s13, v2
	v_and_b32_e32 v2, 16, v30
	s_cmp_eq_u32 s13, 0
	s_delay_alu instid0(VALU_DEP_1) | instskip(SKIP_3) | instid1(SALU_CYCLE_1)
	v_cmp_ne_u32_e64 s13, 0, v2
	s_cselect_b32 s20, -1, 0
	v_and_b32_e32 v2, 16, v30
	s_and_b32 s20, vcc_lo, s20
	s_and_b32 s20, s13, s20
	s_delay_alu instid0(SALU_CYCLE_1)
	s_and_saveexec_b32 s13, s20
	s_cbranch_execz .LBB6_489
; %bb.488:                              ;   in Loop: Header=BB6_422 Depth=3
	v_mov_b32_e32 v2, 1
	global_wb scope:SCOPE_SYS
	s_wait_loadcnt 0x0
	s_wait_storecnt 0x0
	global_inv scope:SCOPE_SYS
.LBB6_489:                              ;   in Loop: Header=BB6_422 Depth=3
	s_or_b32 exec_lo, exec_lo, s13
.LBB6_490:                              ;   in Loop: Header=BB6_422 Depth=3
	s_delay_alu instid0(SALU_CYCLE_1) | instskip(NEXT) | instid1(VALU_DEP_1)
	s_or_b32 exec_lo, exec_lo, s17
	v_cmp_ne_u32_e32 vcc_lo, 0, v2
	s_xor_b32 s13, s4, -1
	s_delay_alu instid0(SALU_CYCLE_1) | instskip(NEXT) | instid1(SALU_CYCLE_1)
	s_and_b32 s17, vcc_lo, s13
	s_and_saveexec_b32 s13, s17
	s_cbranch_execz .LBB6_492
; %bb.491:                              ;   in Loop: Header=BB6_422 Depth=3
	global_wb scope:SCOPE_SYS
	s_wait_storecnt 0x0
	s_wait_loadcnt_dscnt 0x0
	flat_store_b32 v[34:35], v121 scope:SCOPE_SYS
.LBB6_492:                              ;   in Loop: Header=BB6_422 Depth=3
	s_wait_xcnt 0x0
	s_or_b32 exec_lo, exec_lo, s13
	v_and_b32_e32 v2, 48, v30
	s_mov_b32 s13, exec_lo
	s_delay_alu instid0(VALU_DEP_1)
	v_cmpx_ne_u32_e32 0, v2
	s_cbranch_execz .LBB6_421
; %bb.493:                              ;   in Loop: Header=BB6_422 Depth=3
	v_add_nc_u64_e32 v[112:113], 2, v[112:113]
	global_wb scope:SCOPE_SYS
	s_wait_storecnt 0x0
	s_wait_loadcnt_dscnt 0x0
	flat_store_b64 v[26:27], v[112:113] scope:SCOPE_SYS
	s_branch .LBB6_421
.LBB6_494:                              ;   in Loop: Header=BB6_47 Depth=1
	v_mul_u64_e32 v[8:9], s[18:19], v[102:103]
	v_mov_b32_e32 v40, 0
	s_delay_alu instid0(VALU_DEP_2) | instskip(NEXT) | instid1(VALU_DEP_1)
	v_sub_nc_u64_e32 v[10:11], v[114:115], v[8:9]
	v_min_i64 v[10:11], v[102:103], v[10:11]
	s_delay_alu instid0(VALU_DEP_1) | instskip(SKIP_1) | instid1(VALU_DEP_2)
	v_max_i32_e32 v124, 0, v10
	v_cmp_lt_i32_e32 vcc_lo, 0, v10
	v_add_nc_u32_e32 v2, 31, v124
	s_and_b32 s13, s61, vcc_lo
	s_delay_alu instid0(VALU_DEP_1) | instskip(NEXT) | instid1(VALU_DEP_1)
	v_lshrrev_b32_e32 v2, 1, v2
	v_and_b32_e32 v11, 0x3ffffff0, v2
	s_delay_alu instid0(VALU_DEP_1)
	v_dual_mov_b32 v2, 0 :: v_dual_max_i32 v118, s57, v11
	s_and_saveexec_b32 s41, s13
	s_cbranch_execz .LBB6_719
; %bb.495:                              ;   in Loop: Header=BB6_47 Depth=1
	v_add_nc_u64_e32 v[8:9], v[8:9], v[116:117]
	v_mov_b32_e32 v40, 0
	s_mov_b32 s74, 1
	s_mov_b32 s73, -1
	s_mov_b32 s72, 0
	s_delay_alu instid0(VALU_DEP_2)
	v_lshlrev_b64_e32 v[42:43], 3, v[8:9]
	s_branch .LBB6_497
.LBB6_496:                              ;   in Loop: Header=BB6_497 Depth=2
	s_wait_xcnt 0x0
	s_or_b32 exec_lo, exec_lo, s13
	v_dual_add_nc_u32 v40, v118, v40 :: v_dual_mov_b32 v2, s74
	s_xor_b32 s13, s73, -1
	s_mov_b32 s73, 0
	s_mov_b32 s74, 2
	s_delay_alu instid0(VALU_DEP_1) | instskip(SKIP_1) | instid1(SALU_CYCLE_1)
	v_cmp_ge_i32_e32 vcc_lo, v40, v124
	s_or_b32 s13, s13, vcc_lo
	s_and_b32 s13, exec_lo, s13
	s_delay_alu instid0(SALU_CYCLE_1) | instskip(NEXT) | instid1(SALU_CYCLE_1)
	s_or_b32 s72, s13, s72
	s_and_not1_b32 exec_lo, exec_lo, s72
	s_cbranch_execz .LBB6_718
.LBB6_497:                              ;   Parent Loop BB6_47 Depth=1
                                        ; =>  This Loop Header: Depth=2
                                        ;       Child Loop BB6_505 Depth 3
                                        ;       Child Loop BB6_533 Depth 3
	;; [unrolled: 1-line block ×5, first 2 shown]
                                        ;         Child Loop BB6_597 Depth 4
                                        ;       Child Loop BB6_611 Depth 3
                                        ;       Child Loop BB6_621 Depth 3
                                        ;         Child Loop BB6_622 Depth 4
                                        ;       Child Loop BB6_642 Depth 3
                                        ;       Child Loop BB6_652 Depth 3
	;; [unrolled: 1-line block ×6, first 2 shown]
	s_and_saveexec_b32 s13, s0
	s_cbranch_execz .LBB6_499
; %bb.498:                              ;   in Loop: Header=BB6_497 Depth=2
	s_trap 2
	ds_load_b64 v[12:13], v2
	ds_load_2addr_b64 v[8:11], v2 offset1:1
	s_wait_dscnt 0x1
	v_cmp_ne_u64_e32 vcc_lo, 0, v[12:13]
	v_ashrrev_i32_e32 v41, 31, v40
	v_add_nc_u64_e32 v[16:17], v[12:13], v[42:43]
	s_wait_dscnt 0x0
	v_add_nc_u64_e32 v[8:9], v[8:9], v[42:43]
	v_add_nc_u64_e32 v[10:11], v[10:11], v[42:43]
	v_lshlrev_b64_e32 v[14:15], 3, v[40:41]
	s_delay_alu instid0(VALU_DEP_1) | instskip(NEXT) | instid1(VALU_DEP_4)
	v_add_nc_u64_e32 v[16:17], v[16:17], v[14:15]
	v_add_nc_u64_e32 v[8:9], v[8:9], v[14:15]
	s_delay_alu instid0(VALU_DEP_4) | instskip(NEXT) | instid1(VALU_DEP_3)
	v_add_nc_u64_e32 v[10:11], v[10:11], v[14:15]
	v_dual_cndmask_b32 v13, 0, v17 :: v_dual_cndmask_b32 v12, 0, v16
	ds_store_b64 v2, v[8:9]
	ds_store_b64 v2, v[10:11]
	;; [unrolled: 1-line block ×3, first 2 shown]
.LBB6_499:                              ;   in Loop: Header=BB6_497 Depth=2
	s_or_b32 exec_lo, exec_lo, s13
	v_dual_sub_nc_u32 v2, v124, v40 :: v_dual_bitop2_b32 v8, 12, v30 bitop3:0x40
	s_mov_b32 s14, exec_lo
	s_delay_alu instid0(VALU_DEP_1) | instskip(NEXT) | instid1(VALU_DEP_2)
	v_min_i32_e32 v118, v118, v2
	v_cmpx_ne_u32_e32 0, v8
	s_cbranch_execz .LBB6_525
; %bb.500:                              ;   in Loop: Header=BB6_497 Depth=2
	v_and_b32_e32 v2, 8, v30
	v_add_nc_u64_e32 v[8:9], 2, v[112:113]
	s_mov_b32 s15, exec_lo
	s_wait_loadcnt_dscnt 0x1
	s_delay_alu instid0(VALU_DEP_2) | instskip(NEXT) | instid1(VALU_DEP_1)
	v_add_nc_u64_e32 v[10:11], v[38:39], v[2:3]
	v_cmpx_lt_u64_e64 v[10:11], v[8:9]
	s_cbranch_execz .LBB6_512
; %bb.501:                              ;   in Loop: Header=BB6_497 Depth=2
	v_and_b32_e32 v10, 64, v30
	s_mov_b32 s16, 0
	s_mov_b32 s45, 0
                                        ; implicit-def: $sgpr17
                                        ; implicit-def: $sgpr20
                                        ; implicit-def: $sgpr44
	s_delay_alu instid0(VALU_DEP_1)
	v_cmp_eq_u32_e32 vcc_lo, 0, v10
	s_branch .LBB6_505
.LBB6_502:                              ;   in Loop: Header=BB6_505 Depth=3
	s_wait_loadcnt_dscnt 0x0
	v_add_nc_u64_e32 v[12:13], v[38:39], v[2:3]
	s_or_b32 s77, s77, exec_lo
	s_delay_alu instid0(VALU_DEP_1)
	v_cmp_ge_u64_e64 s13, v[12:13], v[8:9]
	s_or_not1_b32 s76, s13, exec_lo
.LBB6_503:                              ;   in Loop: Header=BB6_505 Depth=3
	s_or_b32 exec_lo, exec_lo, s79
	s_delay_alu instid0(SALU_CYCLE_1)
	s_and_not1_b32 s13, s44, exec_lo
	s_and_b32 s44, s77, exec_lo
	s_and_not1_b32 s20, s20, exec_lo
	s_and_b32 s76, s76, exec_lo
	s_or_b32 s44, s13, s44
	s_or_b32 s20, s20, s76
.LBB6_504:                              ;   in Loop: Header=BB6_505 Depth=3
	s_or_b32 exec_lo, exec_lo, s75
	s_delay_alu instid0(SALU_CYCLE_1) | instskip(NEXT) | instid1(SALU_CYCLE_1)
	s_and_b32 s13, exec_lo, s20
	s_or_b32 s16, s13, s16
	s_and_not1_b32 s13, s17, exec_lo
	s_and_b32 s17, s44, exec_lo
	s_delay_alu instid0(SALU_CYCLE_1)
	s_or_b32 s17, s13, s17
	s_and_not1_b32 exec_lo, exec_lo, s16
	s_cbranch_execz .LBB6_509
.LBB6_505:                              ;   Parent Loop BB6_47 Depth=1
                                        ;     Parent Loop BB6_497 Depth=2
                                        ; =>    This Inner Loop Header: Depth=3
	s_sleep 1
	s_wait_loadcnt_dscnt 0x0
	flat_load_b64 v[38:39], v[26:27] scope:SCOPE_SYS
	s_or_b32 s44, s44, exec_lo
	s_or_b32 s20, s20, exec_lo
                                        ; implicit-def: $vgpr10
	s_wait_xcnt 0x0
	s_and_saveexec_b32 s75, vcc_lo
	s_cbranch_execz .LBB6_504
; %bb.506:                              ;   in Loop: Header=BB6_505 Depth=3
	s_cmp_lt_i32 s45, 0x270f
	s_mov_b32 s76, -1
	s_cselect_b32 s78, -1, 0
	s_cmp_gt_i32 s45, 0x270e
	s_cbranch_scc0 .LBB6_508
; %bb.507:                              ;   in Loop: Header=BB6_505 Depth=3
	s_trap 2
	ds_load_b64 v[10:11], v11
	s_and_not1_b32 s45, s78, exec_lo
	s_mov_b32 s77, 0
	s_wait_storecnt 0x0
	s_wait_loadcnt_dscnt 0x0
	flat_load_b32 v10, v[10:11] scope:SCOPE_SYS
	s_wait_loadcnt_dscnt 0x0
	global_inv scope:SCOPE_SYS
	v_cmp_eq_u32_e64 s13, 0, v10
	s_and_b32 s13, s13, exec_lo
	s_delay_alu instid0(SALU_CYCLE_1)
	s_or_b32 s78, s45, s13
	s_mov_b32 s45, 0
	s_and_saveexec_b32 s79, s78
	s_cbranch_execz .LBB6_503
	s_branch .LBB6_502
.LBB6_508:                              ;   in Loop: Header=BB6_505 Depth=3
	s_add_co_i32 s45, s45, 1
	s_mov_b32 s77, -1
                                        ; implicit-def: $vgpr10
	s_and_saveexec_b32 s79, s78
	s_cbranch_execz .LBB6_503
	s_branch .LBB6_502
.LBB6_509:                              ;   in Loop: Header=BB6_497 Depth=2
	s_or_b32 exec_lo, exec_lo, s16
	s_xor_b32 s13, s17, -1
	s_delay_alu instid0(SALU_CYCLE_1) | instskip(NEXT) | instid1(SALU_CYCLE_1)
	s_and_saveexec_b32 s16, s13
	s_xor_b32 s13, exec_lo, s16
	s_cbranch_execz .LBB6_511
; %bb.510:                              ;   in Loop: Header=BB6_497 Depth=2
	v_or_b32_e32 v30, 64, v30
	s_wait_storecnt 0x0
	s_wait_loadcnt_dscnt 0x0
	ds_store_b32 v11, v10
	s_trap 2
.LBB6_511:                              ;   in Loop: Header=BB6_497 Depth=2
	s_or_b32 exec_lo, exec_lo, s13
.LBB6_512:                              ;   in Loop: Header=BB6_497 Depth=2
	s_delay_alu instid0(SALU_CYCLE_1) | instskip(SKIP_2) | instid1(VALU_DEP_1)
	s_or_b32 exec_lo, exec_lo, s15
	v_and_b32_e32 v10, 0x108, v30
	;;#ASMSTART
	s_wakeup
	;;#ASMEND
	v_cmp_ne_u32_e32 vcc_lo, 0x108, v10
                                        ; implicit-def: $vgpr10_vgpr11
	s_and_saveexec_b32 s13, vcc_lo
	s_delay_alu instid0(SALU_CYCLE_1)
	s_xor_b32 s13, exec_lo, s13
; %bb.513:                              ;   in Loop: Header=BB6_497 Depth=2
	v_dual_mov_b32 v11, v3 :: v_dual_bitop2_b32 v10, 7, v112 bitop3:0x40
                                        ; implicit-def: $vgpr112_vgpr113
; %bb.514:                              ;   in Loop: Header=BB6_497 Depth=2
	s_and_not1_saveexec_b32 s13, s13
	s_cbranch_execz .LBB6_516
; %bb.515:                              ;   in Loop: Header=BB6_497 Depth=2
	v_dual_ashrrev_i32 v119, 31, v118 :: v_dual_bitop2_b32 v10, 7, v112 bitop3:0x40
	v_mov_b32_e32 v11, v3
	s_delay_alu instid0(VALU_DEP_2) | instskip(NEXT) | instid1(VALU_DEP_3)
	v_mad_nc_u64_u32 v[12:13], v10, 24, v[6:7]
	v_lshlrev_b64_e32 v[14:15], 3, v[118:119]
	flat_store_b64 v[12:13], v[14:15] offset:8
.LBB6_516:                              ;   in Loop: Header=BB6_497 Depth=2
	s_wait_xcnt 0x0
	s_or_b32 exec_lo, exec_lo, s13
	v_and_b32_e32 v12, 0x100, v30
	s_mov_b32 s13, -1
	s_delay_alu instid0(VALU_DEP_1)
	v_cmp_ne_u32_e32 vcc_lo, 0, v12
                                        ; implicit-def: $vgpr12_vgpr13
	s_and_saveexec_b32 s15, vcc_lo
	s_cbranch_execz .LBB6_520
; %bb.517:                              ;   in Loop: Header=BB6_497 Depth=2
	v_mad_nc_u64_u32 v[14:15], v10, 24, v[6:7]
	s_delay_alu instid0(VALU_DEP_1)
	v_mad_u32 v15, v11, 24, v15
	flat_load_b32 v12, v[14:15]
	s_wait_loadcnt_dscnt 0x0
	v_cmp_eq_u32_e64 s13, 1, v12
	v_cmp_ne_u32_e32 vcc_lo, 1, v12
                                        ; implicit-def: $vgpr12_vgpr13
	s_wait_xcnt 0x0
	s_and_saveexec_b32 s16, s13
	s_cbranch_execz .LBB6_519
; %bb.518:                              ;   in Loop: Header=BB6_497 Depth=2
	flat_load_b32 v12, v[14:15] offset:4 scope:SCOPE_SYS
	s_wait_loadcnt_dscnt 0x0
	v_ashrrev_i32_e32 v13, 31, v12
	s_delay_alu instid0(VALU_DEP_1)
	v_lshrrev_b64 v[12:13], 3, v[12:13]
.LBB6_519:                              ;   in Loop: Header=BB6_497 Depth=2
	s_wait_xcnt 0x0
	s_or_b32 exec_lo, exec_lo, s16
	s_delay_alu instid0(SALU_CYCLE_1)
	s_or_not1_b32 s13, vcc_lo, exec_lo
.LBB6_520:                              ;   in Loop: Header=BB6_497 Depth=2
	s_or_b32 exec_lo, exec_lo, s15
	s_and_saveexec_b32 s15, s13
; %bb.521:                              ;   in Loop: Header=BB6_497 Depth=2
	v_mul_u64_e32 v[12:13], v[10:11], v[28:29]
; %bb.522:                              ;   in Loop: Header=BB6_497 Depth=2
	s_or_b32 exec_lo, exec_lo, s15
	v_cmp_eq_u32_e32 vcc_lo, 0, v2
	v_and_b32_e32 v14, 0x2000, v30
	s_delay_alu instid0(VALU_DEP_3) | instskip(SKIP_2) | instid1(VALU_DEP_1)
	v_lshl_add_u64 v[10:11], v[12:13], 3, v[32:33]
	s_mov_b32 s13, exec_lo
	v_cndmask_b32_e32 v2, 0xd0, v122, vcc_lo
	v_add_nc_u32_e32 v2, v0, v2
	ds_store_b64 v2, v[10:11] offset:584
	v_cmpx_ne_u32_e32 0, v14
	s_cbranch_execz .LBB6_524
; %bb.523:                              ;   in Loop: Header=BB6_497 Depth=2
	ds_load_b64 v[10:11], v0 offset:872
	s_wait_dscnt 0x0
	v_add_nc_u64_e32 v[10:11], 1, v[10:11]
	ds_store_b64 v0, v[10:11] offset:872
.LBB6_524:                              ;   in Loop: Header=BB6_497 Depth=2
	s_or_b32 exec_lo, exec_lo, s13
	v_mov_b64_e32 v[112:113], v[8:9]
.LBB6_525:                              ;   in Loop: Header=BB6_497 Depth=2
	s_or_b32 exec_lo, exec_lo, s14
	s_and_saveexec_b32 s13, s2
	s_cbranch_execz .LBB6_544
; %bb.526:                              ;   in Loop: Header=BB6_497 Depth=2
	s_and_saveexec_b32 s14, s3
	s_delay_alu instid0(SALU_CYCLE_1)
	s_xor_b32 s14, exec_lo, s14
	s_cbranch_execz .LBB6_541
; %bb.527:                              ;   in Loop: Header=BB6_497 Depth=2
	s_and_saveexec_b32 s15, s6
	s_cbranch_execz .LBB6_540
; %bb.528:                              ;   in Loop: Header=BB6_497 Depth=2
	s_mov_b32 s17, exec_lo
	s_mov_b32 s16, exec_lo
	v_mbcnt_lo_u32_b32 v2, s17, 0
	global_wb scope:SCOPE_DEV
	s_wait_storecnt 0x0
	s_wait_loadcnt_dscnt 0x0
	global_inv scope:SCOPE_DEV
	v_cmpx_eq_u32_e32 0, v2
	s_cbranch_execz .LBB6_530
; %bb.529:                              ;   in Loop: Header=BB6_497 Depth=2
	s_bcnt1_i32_b32 s17, s17
	s_delay_alu instid0(SALU_CYCLE_1)
	v_mov_b32_e32 v2, s17
	s_wait_loadcnt 0x0
	ds_add_u64 v2, v[2:3]
	s_trap 2
.LBB6_530:                              ;   in Loop: Header=BB6_497 Depth=2
	s_or_b32 exec_lo, exec_lo, s16
	s_trap 2
	ds_load_b64 v[8:9], v2
	s_wait_dscnt 0x0
	v_add_nc_u64_e32 v[36:37], v[36:37], v[48:49]
	s_mov_b32 s16, exec_lo
	s_delay_alu instid0(VALU_DEP_1)
	v_cmpx_lt_u64_e64 v[8:9], v[36:37]
	s_cbranch_execz .LBB6_539
; %bb.531:                              ;   in Loop: Header=BB6_497 Depth=2
	s_mov_b32 s17, 0
	s_mov_b32 s45, 0
                                        ; implicit-def: $sgpr20
                                        ; implicit-def: $sgpr44
	s_branch .LBB6_533
.LBB6_532:                              ;   in Loop: Header=BB6_533 Depth=3
	s_or_b32 exec_lo, exec_lo, s76
	s_delay_alu instid0(SALU_CYCLE_1) | instskip(NEXT) | instid1(SALU_CYCLE_1)
	s_and_b32 s75, exec_lo, s77
	s_or_b32 s17, s75, s17
	s_and_not1_b32 s20, s20, exec_lo
	s_and_b32 s75, s44, exec_lo
	s_delay_alu instid0(SALU_CYCLE_1)
	s_or_b32 s20, s20, s75
	s_and_not1_b32 exec_lo, exec_lo, s17
	s_cbranch_execz .LBB6_537
.LBB6_533:                              ;   Parent Loop BB6_47 Depth=1
                                        ;     Parent Loop BB6_497 Depth=2
                                        ; =>    This Inner Loop Header: Depth=3
	s_add_co_i32 s45, s45, 1
	s_delay_alu instid0(SALU_CYCLE_1) | instskip(SKIP_1) | instid1(SALU_CYCLE_1)
	s_cmp_lg_u32 s45, 0x2710
	s_cselect_b32 s75, -1, 0
	s_and_b32 vcc_lo, exec_lo, s75
	s_cbranch_vccz .LBB6_535
; %bb.534:                              ;   in Loop: Header=BB6_533 Depth=3
	s_mov_b32 s77, -1
	s_or_b32 s44, s44, exec_lo
	s_and_saveexec_b32 s76, s75
	s_cbranch_execz .LBB6_532
	s_branch .LBB6_536
.LBB6_535:                              ;   in Loop: Header=BB6_533 Depth=3
	s_trap 2
	ds_load_b64 v[8:9], v2
	s_and_not1_b32 s75, s75, exec_lo
	s_mov_b32 s45, 0
	s_wait_loadcnt_dscnt 0x0
	flat_load_b32 v2, v[8:9] scope:SCOPE_SYS
	s_wait_loadcnt_dscnt 0x0
	global_inv scope:SCOPE_SYS
	v_cmp_eq_u32_e32 vcc_lo, 0, v2
	s_and_b32 s76, vcc_lo, exec_lo
	s_delay_alu instid0(SALU_CYCLE_1)
	s_or_b32 s75, s75, s76
	s_mov_b32 s77, -1
	s_or_b32 s44, s44, exec_lo
	s_and_saveexec_b32 s76, s75
	s_cbranch_execz .LBB6_532
.LBB6_536:                              ;   in Loop: Header=BB6_533 Depth=3
	s_sleep 1
	s_trap 2
	ds_load_b64 v[8:9], v2
	s_wait_dscnt 0x0
	s_and_not1_b32 s44, s44, exec_lo
	v_cmp_ge_u64_e32 vcc_lo, v[8:9], v[36:37]
	s_or_not1_b32 s77, vcc_lo, exec_lo
	s_branch .LBB6_532
.LBB6_537:                              ;   in Loop: Header=BB6_497 Depth=2
	s_or_b32 exec_lo, exec_lo, s17
	s_and_saveexec_b32 s17, s20
	s_delay_alu instid0(SALU_CYCLE_1)
	s_xor_b32 s17, exec_lo, s17
	s_cbranch_execz .LBB6_539
; %bb.538:                              ;   in Loop: Header=BB6_497 Depth=2
	ds_store_b32 v2, v121
	s_trap 2
.LBB6_539:                              ;   in Loop: Header=BB6_497 Depth=2
	s_or_b32 exec_lo, exec_lo, s16
	;;#ASMSTART
	s_wakeup
	;;#ASMEND
.LBB6_540:                              ;   in Loop: Header=BB6_497 Depth=2
	s_or_b32 exec_lo, exec_lo, s15
.LBB6_541:                              ;   in Loop: Header=BB6_497 Depth=2
	s_and_not1_saveexec_b32 s14, s14
	s_cbranch_execz .LBB6_543
; %bb.542:                              ;   in Loop: Header=BB6_497 Depth=2
	global_wb scope:SCOPE_DEV
	s_wait_storecnt 0x0
	s_wait_loadcnt_dscnt 0x0
	global_inv scope:SCOPE_DEV
	s_barrier_signal -1
	s_barrier_wait -1
.LBB6_543:                              ;   in Loop: Header=BB6_497 Depth=2
	s_or_b32 exec_lo, exec_lo, s14
.LBB6_544:                              ;   in Loop: Header=BB6_497 Depth=2
	s_delay_alu instid0(SALU_CYCLE_1) | instskip(SKIP_4) | instid1(VALU_DEP_1)
	s_or_b32 exec_lo, exec_lo, s13
	s_trap 2
	ds_load_b32 v8, v2
	v_and_b32_e32 v2, 0x4000, v30
	s_xor_b32 s13, s1, -1
	v_cmp_ne_u32_e32 vcc_lo, 0, v2
	s_and_b32 s14, s13, vcc_lo
	s_delay_alu instid0(SALU_CYCLE_1)
	s_and_saveexec_b32 s13, s14
	s_cbranch_execz .LBB6_563
; %bb.545:                              ;   in Loop: Header=BB6_497 Depth=2
	s_and_saveexec_b32 s14, s3
	s_delay_alu instid0(SALU_CYCLE_1)
	s_xor_b32 s14, exec_lo, s14
	s_cbranch_execz .LBB6_560
; %bb.546:                              ;   in Loop: Header=BB6_497 Depth=2
	s_and_saveexec_b32 s15, s6
	s_cbranch_execz .LBB6_559
; %bb.547:                              ;   in Loop: Header=BB6_497 Depth=2
	s_mov_b32 s17, exec_lo
	s_mov_b32 s16, exec_lo
	v_mbcnt_lo_u32_b32 v2, s17, 0
	global_wb scope:SCOPE_DEV
	s_wait_storecnt 0x0
	s_wait_loadcnt_dscnt 0x0
	global_inv scope:SCOPE_DEV
	v_cmpx_eq_u32_e32 0, v2
	s_cbranch_execz .LBB6_549
; %bb.548:                              ;   in Loop: Header=BB6_497 Depth=2
	s_bcnt1_i32_b32 s17, s17
	s_delay_alu instid0(SALU_CYCLE_1)
	v_mov_b32_e32 v2, s17
	s_wait_loadcnt 0x0
	ds_add_u64 v2, v[2:3]
	s_trap 2
.LBB6_549:                              ;   in Loop: Header=BB6_497 Depth=2
	s_or_b32 exec_lo, exec_lo, s16
	s_trap 2
	ds_load_b64 v[10:11], v2
	s_wait_dscnt 0x0
	v_add_nc_u64_e32 v[36:37], v[36:37], v[48:49]
	s_mov_b32 s16, exec_lo
	s_delay_alu instid0(VALU_DEP_1)
	v_cmpx_lt_u64_e64 v[10:11], v[36:37]
	s_cbranch_execz .LBB6_558
; %bb.550:                              ;   in Loop: Header=BB6_497 Depth=2
	s_mov_b32 s17, 0
	s_mov_b32 s45, 0
                                        ; implicit-def: $sgpr20
                                        ; implicit-def: $sgpr44
	s_branch .LBB6_552
.LBB6_551:                              ;   in Loop: Header=BB6_552 Depth=3
	s_or_b32 exec_lo, exec_lo, s76
	s_delay_alu instid0(SALU_CYCLE_1) | instskip(NEXT) | instid1(SALU_CYCLE_1)
	s_and_b32 s75, exec_lo, s77
	s_or_b32 s17, s75, s17
	s_and_not1_b32 s20, s20, exec_lo
	s_and_b32 s75, s44, exec_lo
	s_delay_alu instid0(SALU_CYCLE_1)
	s_or_b32 s20, s20, s75
	s_and_not1_b32 exec_lo, exec_lo, s17
	s_cbranch_execz .LBB6_556
.LBB6_552:                              ;   Parent Loop BB6_47 Depth=1
                                        ;     Parent Loop BB6_497 Depth=2
                                        ; =>    This Inner Loop Header: Depth=3
	s_add_co_i32 s45, s45, 1
	s_delay_alu instid0(SALU_CYCLE_1) | instskip(SKIP_1) | instid1(SALU_CYCLE_1)
	s_cmp_lg_u32 s45, 0x2710
	s_cselect_b32 s75, -1, 0
	s_and_b32 vcc_lo, exec_lo, s75
	s_cbranch_vccz .LBB6_554
; %bb.553:                              ;   in Loop: Header=BB6_552 Depth=3
	s_mov_b32 s77, -1
	s_or_b32 s44, s44, exec_lo
	s_and_saveexec_b32 s76, s75
	s_cbranch_execz .LBB6_551
	s_branch .LBB6_555
.LBB6_554:                              ;   in Loop: Header=BB6_552 Depth=3
	s_trap 2
	ds_load_b64 v[10:11], v2
	s_and_not1_b32 s75, s75, exec_lo
	s_mov_b32 s45, 0
	s_wait_loadcnt_dscnt 0x0
	flat_load_b32 v2, v[10:11] scope:SCOPE_SYS
	s_wait_loadcnt_dscnt 0x0
	global_inv scope:SCOPE_SYS
	v_cmp_eq_u32_e32 vcc_lo, 0, v2
	s_and_b32 s76, vcc_lo, exec_lo
	s_delay_alu instid0(SALU_CYCLE_1)
	s_or_b32 s75, s75, s76
	s_mov_b32 s77, -1
	s_or_b32 s44, s44, exec_lo
	s_and_saveexec_b32 s76, s75
	s_cbranch_execz .LBB6_551
.LBB6_555:                              ;   in Loop: Header=BB6_552 Depth=3
	s_sleep 1
	s_trap 2
	ds_load_b64 v[10:11], v2
	s_wait_dscnt 0x0
	s_and_not1_b32 s44, s44, exec_lo
	v_cmp_ge_u64_e32 vcc_lo, v[10:11], v[36:37]
	s_or_not1_b32 s77, vcc_lo, exec_lo
	s_branch .LBB6_551
.LBB6_556:                              ;   in Loop: Header=BB6_497 Depth=2
	s_or_b32 exec_lo, exec_lo, s17
	s_and_saveexec_b32 s17, s20
	s_delay_alu instid0(SALU_CYCLE_1)
	s_xor_b32 s17, exec_lo, s17
	s_cbranch_execz .LBB6_558
; %bb.557:                              ;   in Loop: Header=BB6_497 Depth=2
	ds_store_b32 v2, v121
	s_trap 2
.LBB6_558:                              ;   in Loop: Header=BB6_497 Depth=2
	s_or_b32 exec_lo, exec_lo, s16
	;;#ASMSTART
	s_wakeup
	;;#ASMEND
.LBB6_559:                              ;   in Loop: Header=BB6_497 Depth=2
	s_or_b32 exec_lo, exec_lo, s15
.LBB6_560:                              ;   in Loop: Header=BB6_497 Depth=2
	s_and_not1_saveexec_b32 s14, s14
	s_cbranch_execz .LBB6_562
; %bb.561:                              ;   in Loop: Header=BB6_497 Depth=2
	global_wb scope:SCOPE_DEV
	s_wait_storecnt 0x0
	s_wait_loadcnt_dscnt 0x0
	global_inv scope:SCOPE_DEV
	s_barrier_signal -1
	s_barrier_wait -1
.LBB6_562:                              ;   in Loop: Header=BB6_497 Depth=2
	s_or_b32 exec_lo, exec_lo, s14
.LBB6_563:                              ;   in Loop: Header=BB6_497 Depth=2
	s_delay_alu instid0(SALU_CYCLE_1)
	s_or_b32 exec_lo, exec_lo, s13
	s_trap 2
	ds_load_b64 v[44:45], v2
	s_wait_dscnt 0x0
	v_cmp_eq_u64_e32 vcc_lo, 0, v[44:45]
	s_cbranch_vccnz .LBB6_575
; %bb.564:                              ;   in Loop: Header=BB6_497 Depth=2
	s_trap 2
	ds_load_b64 v[46:47], v2
	s_wait_dscnt 0x0
	v_cmp_eq_u64_e32 vcc_lo, 0, v[46:47]
	s_cbranch_vccnz .LBB6_575
; %bb.565:                              ;   in Loop: Header=BB6_497 Depth=2
	s_trap 2
	ds_load_b64 v[56:57], v2
	v_cmp_eq_u32_e32 vcc_lo, 0, v8
	s_mov_b32 s13, -1
	v_cndmask_b32_e32 v119, 0, v118, vcc_lo
	s_delay_alu instid0(VALU_DEP_1)
	v_lshlrev_b32_e32 v41, 3, v119
	s_wait_dscnt 0x0
	v_cmp_ne_u64_e32 vcc_lo, 0, v[56:57]
	s_cbranch_vccz .LBB6_625
; %bb.566:                              ;   in Loop: Header=BB6_497 Depth=2
	s_and_saveexec_b32 s14, s11
	s_cbranch_execz .LBB6_568
; %bb.567:                              ;   in Loop: Header=BB6_497 Depth=2
	ds_load_b32 v2, v0 offset:720
	s_wait_dscnt 0x0
	v_and_b32_e32 v2, 15, v2
	s_delay_alu instid0(VALU_DEP_1)
	v_cmp_eq_u32_e32 vcc_lo, 0, v2
	s_or_not1_b32 s13, vcc_lo, exec_lo
.LBB6_568:                              ;   in Loop: Header=BB6_497 Depth=2
	s_or_b32 exec_lo, exec_lo, s14
	s_and_saveexec_b32 s14, s11
	s_cbranch_execz .LBB6_570
; %bb.569:                              ;   in Loop: Header=BB6_497 Depth=2
	ds_load_b32 v2, v0 offset:784
	s_wait_dscnt 0x0
	v_and_b32_e32 v2, 15, v2
	s_delay_alu instid0(VALU_DEP_1) | instskip(SKIP_3) | instid1(SALU_CYCLE_1)
	v_cmp_eq_u32_e32 vcc_lo, 0, v2
	s_and_b32 s15, s13, vcc_lo
	s_and_not1_b32 s13, s13, exec_lo
	s_and_b32 s15, s15, exec_lo
	s_or_b32 s13, s13, s15
.LBB6_570:                              ;   in Loop: Header=BB6_497 Depth=2
	s_or_b32 exec_lo, exec_lo, s14
	s_xor_b32 s13, s13, -1
	s_delay_alu instid0(SALU_CYCLE_1) | instskip(SKIP_1) | instid1(VALU_DEP_1)
	v_cndmask_b32_e64 v2, 0, 1, s13
	s_mov_b32 s13, -1
	v_cmp_ne_u32_e32 vcc_lo, 0, v2
	s_cbranch_vccz .LBB6_580
; %bb.571:                              ;   in Loop: Header=BB6_497 Depth=2
	v_alignbit_b32 v2, v56, v56, 1
	s_mov_b32 s76, -1
	s_delay_alu instid0(VALU_DEP_1) | instskip(SKIP_2) | instid1(SALU_CYCLE_1)
	v_readfirstlane_b32 s13, v2
	v_readfirstlane_b32 s75, v2
	s_and_b32 s20, s13, 0x7fffffff
	s_mov_b64 s[44:45], s[20:21]
	v_mov_b32_e32 v125, 0
	s_cbranch_execnz .LBB6_581
.LBB6_572:                              ;   in Loop: Header=BB6_497 Depth=2
	v_alignbit_b32 v2, v56, v56, 1
	v_mov_b64_e32 v[58:59], -1
	s_delay_alu instid0(VALU_DEP_2) | instskip(SKIP_2) | instid1(SALU_CYCLE_1)
	v_readfirstlane_b32 s13, v2
	v_readfirstlane_b32 s75, v2
	s_and_b32 s20, s13, 0x7fffffff
	s_cmp_lt_i32 s20, 1
	s_cbranch_scc1 .LBB6_584
; %bb.573:                              ;   in Loop: Header=BB6_497 Depth=2
	s_cmp_lg_u32 s20, 1
	s_cbranch_scc1 .LBB6_582
; %bb.574:                              ;   in Loop: Header=BB6_497 Depth=2
	s_mov_b64 s[16:17], 0x8000000000000000
	s_mov_b64 s[14:15], 1
	s_branch .LBB6_583
.LBB6_575:                              ;   in Loop: Header=BB6_497 Depth=2
	s_mov_b32 s13, 0
	s_and_saveexec_b32 s14, s2
	s_cbranch_execnz .LBB6_677
.LBB6_576:                              ;   in Loop: Header=BB6_497 Depth=2
	s_or_b32 exec_lo, exec_lo, s14
                                        ; implicit-def: $vgpr2
	s_and_saveexec_b32 s14, s12
	s_delay_alu instid0(SALU_CYCLE_1)
	s_xor_b32 s14, exec_lo, s14
	s_cbranch_execz .LBB6_695
.LBB6_577:                              ;   in Loop: Header=BB6_497 Depth=2
	v_and_b32_e32 v2, 16, v30
	s_delay_alu instid0(VALU_DEP_1) | instskip(SKIP_2) | instid1(SALU_CYCLE_1)
	v_cmp_ne_u32_e32 vcc_lo, 0, v2
	v_and_b32_e32 v2, 16, v30
	s_and_b32 s15, vcc_lo, s13
	s_and_saveexec_b32 s13, s15
	s_cbranch_execz .LBB6_579
; %bb.578:                              ;   in Loop: Header=BB6_497 Depth=2
	v_mov_b32_e32 v2, 1
	global_wb scope:SCOPE_SYS
	s_wait_storecnt 0x0
	s_wait_loadcnt_dscnt 0x0
	global_inv scope:SCOPE_SYS
.LBB6_579:                              ;   in Loop: Header=BB6_497 Depth=2
	s_or_b32 exec_lo, exec_lo, s13
	s_and_not1_saveexec_b32 s13, s14
	s_cbranch_execz .LBB6_714
	s_branch .LBB6_696
.LBB6_580:                              ;   in Loop: Header=BB6_497 Depth=2
	s_mov_b32 s76, 0
                                        ; implicit-def: $sgpr75
                                        ; implicit-def: $sgpr44_sgpr45
	v_mov_b32_e32 v125, 0
	s_and_not1_b32 vcc_lo, exec_lo, s13
	s_cbranch_vccz .LBB6_572
.LBB6_581:                              ;   in Loop: Header=BB6_497 Depth=2
	v_dual_mov_b32 v126, v41 :: v_dual_mov_b32 v2, v0
	v_mov_b32_e32 v22, v20
	s_and_saveexec_b32 s77, s76
	s_cbranch_execnz .LBB6_604
	s_branch .LBB6_624
.LBB6_582:                              ;   in Loop: Header=BB6_497 Depth=2
	s_mov_b64 s[14:15], 3
	s_mov_b64 s[16:17], 0
.LBB6_583:                              ;   in Loop: Header=BB6_497 Depth=2
	v_cmp_lt_u64_e64 s13, s[14:15], s[20:21]
	s_or_b64 s[44:45], s[16:17], 2.0
	s_mov_b32 s15, s21
	s_and_b32 s13, s13, exec_lo
	s_cselect_b32 s13, 0, s20
	s_cselect_b32 s17, s17, s45
	;; [unrolled: 1-line block ×3, first 2 shown]
	s_sub_co_i32 s13, s14, s13
	s_or_b64 s[44:45], s[16:17], 0x2000000000000000
	s_lshl_b32 s13, s13, 1
	s_delay_alu instid0(SALU_CYCLE_1) | instskip(NEXT) | instid1(SALU_CYCLE_1)
	s_or_b32 s14, s13, 1
	v_cmp_lt_u64_e64 s13, s[14:15], s[20:21]
	s_and_b32 s13, s13, exec_lo
	s_cselect_b32 s17, s17, s45
	s_cselect_b32 s16, s16, s44
	s_sub_nc_u64 s[44:45], s[14:15], s[20:21]
	s_delay_alu instid0(SALU_CYCLE_1) | instskip(SKIP_1) | instid1(VALU_DEP_1)
	v_min_u64 v[8:9], s[14:15], s[44:45]
	s_or_b64 s[14:15], s[16:17], 0x1000000000000000
	v_lshlrev_b64_e32 v[8:9], 1, v[8:9]
	s_delay_alu instid0(VALU_DEP_1) | instskip(NEXT) | instid1(VALU_DEP_1)
	v_or_b32_e32 v8, 1, v8
	v_sub_nc_u64_e64 v[10:11], v[8:9], s[20:21]
	v_cmp_gt_u64_e32 vcc_lo, s[20:21], v[8:9]
	s_delay_alu instid0(VALU_DEP_2) | instskip(SKIP_3) | instid1(SALU_CYCLE_1)
	v_min_u64 v[8:9], v[8:9], v[10:11]
	s_and_b32 s13, vcc_lo, exec_lo
	s_cselect_b32 s15, s17, s15
	s_cselect_b32 s14, s16, s14
	s_or_b64 s[16:17], s[14:15], 0x800000000000000
	s_delay_alu instid0(VALU_DEP_1) | instskip(NEXT) | instid1(VALU_DEP_1)
	v_lshlrev_b64_e32 v[8:9], 1, v[8:9]
	v_or_b32_e32 v8, 1, v8
	s_delay_alu instid0(VALU_DEP_1) | instskip(SKIP_1) | instid1(VALU_DEP_2)
	v_sub_nc_u64_e64 v[10:11], v[8:9], s[20:21]
	v_cmp_gt_u64_e32 vcc_lo, s[20:21], v[8:9]
	v_min_u64 v[8:9], v[8:9], v[10:11]
	s_and_b32 s13, vcc_lo, exec_lo
	s_cselect_b32 s15, s15, s17
	s_cselect_b32 s14, s14, s16
	s_delay_alu instid0(SALU_CYCLE_1) | instskip(NEXT) | instid1(VALU_DEP_1)
	s_or_b64 s[16:17], s[14:15], 0x400000000000000
	v_lshlrev_b64_e32 v[8:9], 1, v[8:9]
	s_delay_alu instid0(VALU_DEP_1) | instskip(NEXT) | instid1(VALU_DEP_1)
	v_or_b32_e32 v8, 1, v8
	v_sub_nc_u64_e64 v[10:11], v[8:9], s[20:21]
	v_cmp_gt_u64_e32 vcc_lo, s[20:21], v[8:9]
	s_delay_alu instid0(VALU_DEP_2) | instskip(SKIP_3) | instid1(SALU_CYCLE_1)
	v_min_u64 v[8:9], v[8:9], v[10:11]
	s_and_b32 s13, vcc_lo, exec_lo
	s_cselect_b32 s15, s15, s17
	s_cselect_b32 s14, s14, s16
	s_or_b64 s[16:17], s[14:15], 0x200000000000000
	s_delay_alu instid0(VALU_DEP_1) | instskip(NEXT) | instid1(VALU_DEP_1)
	v_lshlrev_b64_e32 v[8:9], 1, v[8:9]
	v_or_b32_e32 v8, 1, v8
	s_delay_alu instid0(VALU_DEP_1) | instskip(SKIP_1) | instid1(VALU_DEP_2)
	v_sub_nc_u64_e64 v[10:11], v[8:9], s[20:21]
	v_cmp_gt_u64_e32 vcc_lo, s[20:21], v[8:9]
	v_min_u64 v[8:9], v[8:9], v[10:11]
	s_and_b32 s13, vcc_lo, exec_lo
	s_cselect_b32 s15, s15, s17
	s_cselect_b32 s14, s14, s16
	s_delay_alu instid0(SALU_CYCLE_1) | instskip(NEXT) | instid1(VALU_DEP_1)
	;; [unrolled: 23-line block ×29, first 2 shown]
	s_or_b64 s[16:17], s[14:15], 4
	v_lshlrev_b64_e32 v[8:9], 1, v[8:9]
	s_delay_alu instid0(VALU_DEP_1) | instskip(NEXT) | instid1(VALU_DEP_1)
	v_or_b32_e32 v8, 1, v8
	v_sub_nc_u64_e64 v[10:11], v[8:9], s[20:21]
	v_cmp_gt_u64_e32 vcc_lo, s[20:21], v[8:9]
	s_delay_alu instid0(VALU_DEP_2) | instskip(SKIP_3) | instid1(SALU_CYCLE_1)
	v_min_u64 v[8:9], v[8:9], v[10:11]
	s_and_b32 s13, vcc_lo, exec_lo
	s_cselect_b32 s15, s15, s17
	s_cselect_b32 s14, s14, s16
	s_or_b64 s[16:17], s[14:15], 2
	s_delay_alu instid0(VALU_DEP_1) | instskip(NEXT) | instid1(VALU_DEP_1)
	v_lshlrev_b64_e32 v[8:9], 1, v[8:9]
	v_or_b32_e32 v8, 1, v8
	s_delay_alu instid0(VALU_DEP_1) | instskip(SKIP_1) | instid1(VALU_DEP_2)
	v_sub_nc_u64_e64 v[10:11], v[8:9], s[20:21]
	v_cmp_gt_u64_e32 vcc_lo, s[20:21], v[8:9]
	v_min_u64 v[8:9], v[8:9], v[10:11]
	s_and_b32 s13, vcc_lo, exec_lo
	s_cselect_b32 s13, s15, s17
	s_cselect_b32 s14, s14, s16
	v_mov_b32_e32 v59, s13
	s_delay_alu instid0(VALU_DEP_2) | instskip(NEXT) | instid1(VALU_DEP_1)
	v_lshlrev_b64_e32 v[8:9], 1, v[8:9]
	v_or_b32_e32 v8, 1, v8
	s_delay_alu instid0(VALU_DEP_1) | instskip(SKIP_1) | instid1(VALU_DEP_1)
	v_cmp_le_u64_e32 vcc_lo, s[20:21], v[8:9]
	v_cndmask_b32_e64 v2, 0, 1, vcc_lo
	v_or_b32_e32 v58, s14, v2
.LBB6_584:                              ;   in Loop: Header=BB6_497 Depth=2
	v_ashrrev_i32_e32 v2, 31, v41
	s_mov_b32 s14, exec_lo
	s_delay_alu instid0(VALU_DEP_1) | instskip(NEXT) | instid1(VALU_DEP_1)
	v_lshrrev_b32_e32 v2, 21, v2
	v_add_nc_u32_e32 v2, v41, v2
	s_delay_alu instid0(VALU_DEP_1) | instskip(NEXT) | instid1(VALU_DEP_1)
	v_ashrrev_i32_e32 v22, 11, v2
	v_sub_nc_u32_e32 v23, v22, v120
	s_delay_alu instid0(VALU_DEP_1)
	v_cmpx_lt_i32_e32 0, v23
	s_cbranch_execz .LBB6_588
; %bb.585:                              ;   in Loop: Header=BB6_497 Depth=2
	s_trap 2
	ds_load_b64 v[8:9], v2
	v_add_nc_u64_e32 v[60:61], v[44:45], v[80:81]
	v_add_nc_u64_e32 v[62:63], v[46:47], v[80:81]
	v_add_nc_u64_e32 v[74:75], v[56:57], v[80:81]
	v_dual_mov_b32 v76, v58 :: v_dual_mov_b32 v77, v3
	s_cmp_lt_i32 s75, 0
	s_mov_b32 s15, 0
	s_cselect_b32 s16, -1, 0
	s_wait_dscnt 0x0
	v_add_nc_u64_e32 v[72:73], v[8:9], v[80:81]
.LBB6_586:                              ;   Parent Loop BB6_47 Depth=1
                                        ;     Parent Loop BB6_497 Depth=2
                                        ; =>    This Inner Loop Header: Depth=3
	s_clause 0x3
	global_load_b128 v[8:11], v[60:61], off th:TH_LOAD_NT
	global_load_b128 v[12:15], v[60:61], off offset:512 th:TH_LOAD_NT
	global_load_b128 v[16:19], v[60:61], off offset:1024 th:TH_LOAD_NT
	;; [unrolled: 1-line block ×3, first 2 shown]
	s_clause 0x3
	global_load_b128 v[88:91], v[72:73], off th:TH_LOAD_NT
	global_load_b128 v[92:95], v[72:73], off offset:512 th:TH_LOAD_NT
	global_load_b128 v[104:107], v[72:73], off offset:1024 th:TH_LOAD_NT
	;; [unrolled: 1-line block ×3, first 2 shown]
	v_sub_nc_u32_e32 v23, v23, v48
	s_wait_xcnt 0x4
	v_add_nc_u64_e32 v[60:61], v[60:61], v[82:83]
	s_wait_xcnt 0x0
	v_add_nc_u64_e32 v[72:73], v[72:73], v[82:83]
	s_wait_loadcnt 0x3
	v_add_nc_u64_e32 v[8:9], v[88:89], v[8:9]
	v_add_nc_u64_e32 v[10:11], v[90:91], v[10:11]
	s_wait_loadcnt 0x2
	v_add_nc_u64_e32 v[12:13], v[92:93], v[12:13]
	s_wait_loadcnt 0x0
	v_add_nc_u64_e32 v[88:89], v[108:109], v[52:53]
	v_add_nc_u64_e32 v[78:79], v[110:111], v[54:55]
	;; [unrolled: 1-line block ×4, first 2 shown]
	v_cmp_gt_i64_e32 vcc_lo, 0, v[8:9]
	v_sub_nc_u64_e32 v[52:53], 0, v[8:9]
	v_add_nc_u64_e32 v[18:19], v[106:107], v[18:19]
	s_and_b32 vcc_lo, s16, vcc_lo
	s_delay_alu instid0(VALU_DEP_2) | instskip(NEXT) | instid1(VALU_DEP_1)
	v_dual_cndmask_b32 v9, v9, v53 :: v_dual_cndmask_b32 v8, v8, v52
	v_mov_b32_e32 v2, v8
	s_delay_alu instid0(VALU_DEP_1) | instskip(NEXT) | instid1(VALU_DEP_1)
	v_mul_u64_e32 v[52:53], v[2:3], v[76:77]
	v_mov_b32_e32 v2, v53
	s_delay_alu instid0(VALU_DEP_1) | instskip(NEXT) | instid1(VALU_DEP_1)
	v_mad_nc_u64_u32 v[52:53], v9, v58, v[2:3]
	v_dual_mov_b32 v2, v52 :: v_dual_mov_b32 v52, v53
	v_mov_b32_e32 v53, v3
	s_delay_alu instid0(VALU_DEP_2) | instskip(NEXT) | instid1(VALU_DEP_2)
	v_mad_nc_u64_u32 v[54:55], v8, v59, v[2:3]
	v_mad_nc_u64_u32 v[52:53], v9, v59, v[52:53]
	s_delay_alu instid0(VALU_DEP_2) | instskip(NEXT) | instid1(VALU_DEP_1)
	v_mov_b32_e32 v2, v55
	v_add_nc_u64_e32 v[52:53], v[52:53], v[2:3]
	s_delay_alu instid0(VALU_DEP_1) | instskip(NEXT) | instid1(VALU_DEP_1)
	v_mul_u64_e32 v[54:55], s[20:21], v[52:53]
	v_sub_nc_u64_e32 v[8:9], v[8:9], v[54:55]
	s_delay_alu instid0(VALU_DEP_1) | instskip(SKIP_1) | instid1(VALU_DEP_2)
	v_cmp_le_u64_e64 s13, s[20:21], v[8:9]
	v_mov_b32_e32 v9, s21
	v_cndmask_b32_e64 v8, 0, 1, s13
	s_delay_alu instid0(VALU_DEP_1) | instskip(NEXT) | instid1(VALU_DEP_1)
	v_add_nc_u64_e32 v[8:9], v[52:53], v[8:9]
	v_sub_nc_u64_e32 v[52:53], 0, v[8:9]
	s_delay_alu instid0(VALU_DEP_1) | instskip(SKIP_3) | instid1(VALU_DEP_1)
	v_dual_cndmask_b32 v9, v9, v53 :: v_dual_cndmask_b32 v8, v8, v52
	v_cmp_gt_i64_e32 vcc_lo, 0, v[10:11]
	v_sub_nc_u64_e32 v[52:53], 0, v[10:11]
	s_and_b32 vcc_lo, s16, vcc_lo
	v_dual_cndmask_b32 v10, v10, v52 :: v_dual_cndmask_b32 v11, v11, v53
	s_delay_alu instid0(VALU_DEP_1) | instskip(NEXT) | instid1(VALU_DEP_1)
	v_mov_b32_e32 v2, v10
	v_mul_u64_e32 v[52:53], v[2:3], v[76:77]
	s_delay_alu instid0(VALU_DEP_1) | instskip(NEXT) | instid1(VALU_DEP_1)
	v_mov_b32_e32 v2, v53
	v_mad_nc_u64_u32 v[52:53], v11, v58, v[2:3]
	s_delay_alu instid0(VALU_DEP_1) | instskip(SKIP_1) | instid1(VALU_DEP_2)
	v_dual_mov_b32 v2, v52 :: v_dual_mov_b32 v52, v53
	v_mov_b32_e32 v53, v3
	v_mad_nc_u64_u32 v[54:55], v10, v59, v[2:3]
	s_delay_alu instid0(VALU_DEP_2) | instskip(NEXT) | instid1(VALU_DEP_2)
	v_mad_nc_u64_u32 v[52:53], v11, v59, v[52:53]
	v_mov_b32_e32 v2, v55
	s_delay_alu instid0(VALU_DEP_1) | instskip(NEXT) | instid1(VALU_DEP_1)
	v_add_nc_u64_e32 v[52:53], v[52:53], v[2:3]
	v_mul_u64_e32 v[54:55], s[20:21], v[52:53]
	s_delay_alu instid0(VALU_DEP_1) | instskip(NEXT) | instid1(VALU_DEP_1)
	v_sub_nc_u64_e32 v[10:11], v[10:11], v[54:55]
	v_cmp_le_u64_e64 s13, s[20:21], v[10:11]
	v_mov_b32_e32 v11, s21
	s_delay_alu instid0(VALU_DEP_2) | instskip(NEXT) | instid1(VALU_DEP_1)
	v_cndmask_b32_e64 v10, 0, 1, s13
	v_add_nc_u64_e32 v[10:11], v[52:53], v[10:11]
	s_delay_alu instid0(VALU_DEP_1) | instskip(NEXT) | instid1(VALU_DEP_1)
	v_sub_nc_u64_e32 v[52:53], 0, v[10:11]
	v_dual_cndmask_b32 v11, v11, v53 :: v_dual_cndmask_b32 v10, v10, v52
	v_cmp_gt_i64_e32 vcc_lo, 0, v[12:13]
	v_sub_nc_u64_e32 v[52:53], 0, v[12:13]
	s_and_b32 vcc_lo, s16, vcc_lo
	s_delay_alu instid0(VALU_DEP_1) | instskip(NEXT) | instid1(VALU_DEP_1)
	v_dual_cndmask_b32 v13, v13, v53 :: v_dual_cndmask_b32 v12, v12, v52
	v_mov_b32_e32 v2, v12
	s_delay_alu instid0(VALU_DEP_1) | instskip(NEXT) | instid1(VALU_DEP_1)
	v_mul_u64_e32 v[52:53], v[2:3], v[76:77]
	v_mov_b32_e32 v2, v53
	s_delay_alu instid0(VALU_DEP_1) | instskip(NEXT) | instid1(VALU_DEP_1)
	v_mad_nc_u64_u32 v[52:53], v13, v58, v[2:3]
	v_dual_mov_b32 v2, v52 :: v_dual_mov_b32 v52, v53
	v_mov_b32_e32 v53, v3
	s_delay_alu instid0(VALU_DEP_2) | instskip(NEXT) | instid1(VALU_DEP_2)
	v_mad_nc_u64_u32 v[54:55], v12, v59, v[2:3]
	v_mad_nc_u64_u32 v[52:53], v13, v59, v[52:53]
	s_delay_alu instid0(VALU_DEP_2) | instskip(NEXT) | instid1(VALU_DEP_1)
	v_mov_b32_e32 v2, v55
	v_add_nc_u64_e32 v[52:53], v[52:53], v[2:3]
	s_delay_alu instid0(VALU_DEP_1) | instskip(NEXT) | instid1(VALU_DEP_1)
	v_mul_u64_e32 v[54:55], s[20:21], v[52:53]
	v_sub_nc_u64_e32 v[12:13], v[12:13], v[54:55]
	s_delay_alu instid0(VALU_DEP_1) | instskip(SKIP_1) | instid1(VALU_DEP_2)
	v_cmp_le_u64_e64 s13, s[20:21], v[12:13]
	v_mov_b32_e32 v13, s21
	v_cndmask_b32_e64 v12, 0, 1, s13
	s_delay_alu instid0(VALU_DEP_1) | instskip(NEXT) | instid1(VALU_DEP_1)
	v_add_nc_u64_e32 v[12:13], v[52:53], v[12:13]
	v_sub_nc_u64_e32 v[52:53], 0, v[12:13]
	s_delay_alu instid0(VALU_DEP_1) | instskip(SKIP_3) | instid1(VALU_DEP_1)
	v_dual_cndmask_b32 v13, v13, v53 :: v_dual_cndmask_b32 v12, v12, v52
	v_cmp_gt_i64_e32 vcc_lo, 0, v[14:15]
	v_sub_nc_u64_e32 v[52:53], 0, v[14:15]
	s_and_b32 vcc_lo, s16, vcc_lo
	v_dual_cndmask_b32 v14, v14, v52 :: v_dual_cndmask_b32 v15, v15, v53
	s_delay_alu instid0(VALU_DEP_1) | instskip(NEXT) | instid1(VALU_DEP_1)
	v_mov_b32_e32 v2, v14
	v_mul_u64_e32 v[52:53], v[2:3], v[76:77]
	s_delay_alu instid0(VALU_DEP_1) | instskip(NEXT) | instid1(VALU_DEP_1)
	v_mov_b32_e32 v2, v53
	v_mad_nc_u64_u32 v[52:53], v15, v58, v[2:3]
	s_delay_alu instid0(VALU_DEP_1) | instskip(SKIP_1) | instid1(VALU_DEP_2)
	v_dual_mov_b32 v2, v52 :: v_dual_mov_b32 v52, v53
	v_mov_b32_e32 v53, v3
	v_mad_nc_u64_u32 v[54:55], v14, v59, v[2:3]
	s_delay_alu instid0(VALU_DEP_2) | instskip(NEXT) | instid1(VALU_DEP_2)
	v_mad_nc_u64_u32 v[52:53], v15, v59, v[52:53]
	v_mov_b32_e32 v2, v55
	s_delay_alu instid0(VALU_DEP_1) | instskip(NEXT) | instid1(VALU_DEP_1)
	v_add_nc_u64_e32 v[52:53], v[52:53], v[2:3]
	v_mul_u64_e32 v[54:55], s[20:21], v[52:53]
	s_delay_alu instid0(VALU_DEP_1) | instskip(NEXT) | instid1(VALU_DEP_1)
	v_sub_nc_u64_e32 v[14:15], v[14:15], v[54:55]
	v_cmp_le_u64_e64 s13, s[20:21], v[14:15]
	v_mov_b32_e32 v15, s21
	s_delay_alu instid0(VALU_DEP_2) | instskip(NEXT) | instid1(VALU_DEP_1)
	v_cndmask_b32_e64 v14, 0, 1, s13
	v_add_nc_u64_e32 v[14:15], v[52:53], v[14:15]
	s_delay_alu instid0(VALU_DEP_1) | instskip(NEXT) | instid1(VALU_DEP_1)
	v_sub_nc_u64_e32 v[52:53], 0, v[14:15]
	v_dual_cndmask_b32 v15, v15, v53 :: v_dual_cndmask_b32 v14, v14, v52
	v_cmp_gt_i64_e32 vcc_lo, 0, v[16:17]
	v_sub_nc_u64_e32 v[52:53], 0, v[16:17]
	s_and_b32 vcc_lo, s16, vcc_lo
	s_delay_alu instid0(VALU_DEP_1) | instskip(NEXT) | instid1(VALU_DEP_1)
	;; [unrolled: 61-line block ×3, first 2 shown]
	v_dual_cndmask_b32 v53, v89, v53 :: v_dual_cndmask_b32 v52, v88, v52
	v_mov_b32_e32 v2, v52
	s_delay_alu instid0(VALU_DEP_1) | instskip(NEXT) | instid1(VALU_DEP_1)
	v_mul_u64_e32 v[54:55], v[2:3], v[76:77]
	v_mov_b32_e32 v2, v55
	s_delay_alu instid0(VALU_DEP_1) | instskip(NEXT) | instid1(VALU_DEP_1)
	v_mad_nc_u64_u32 v[54:55], v53, v58, v[2:3]
	v_dual_mov_b32 v2, v54 :: v_dual_mov_b32 v54, v55
	v_mov_b32_e32 v55, v3
	s_delay_alu instid0(VALU_DEP_2) | instskip(NEXT) | instid1(VALU_DEP_2)
	v_mad_nc_u64_u32 v[88:89], v52, v59, v[2:3]
	v_mad_nc_u64_u32 v[54:55], v53, v59, v[54:55]
	s_delay_alu instid0(VALU_DEP_2) | instskip(NEXT) | instid1(VALU_DEP_1)
	v_mov_b32_e32 v2, v89
	v_add_nc_u64_e32 v[54:55], v[54:55], v[2:3]
	s_delay_alu instid0(VALU_DEP_1) | instskip(NEXT) | instid1(VALU_DEP_1)
	v_mul_u64_e32 v[88:89], s[20:21], v[54:55]
	v_sub_nc_u64_e32 v[52:53], v[52:53], v[88:89]
	s_delay_alu instid0(VALU_DEP_1) | instskip(SKIP_1) | instid1(VALU_DEP_2)
	v_cmp_le_u64_e64 s13, s[20:21], v[52:53]
	v_mov_b32_e32 v53, s21
	v_cndmask_b32_e64 v52, 0, 1, s13
	s_delay_alu instid0(VALU_DEP_1) | instskip(NEXT) | instid1(VALU_DEP_1)
	v_add_nc_u64_e32 v[52:53], v[54:55], v[52:53]
	v_sub_nc_u64_e32 v[54:55], 0, v[52:53]
	s_delay_alu instid0(VALU_DEP_1) | instskip(SKIP_3) | instid1(VALU_DEP_1)
	v_dual_cndmask_b32 v53, v53, v55 :: v_dual_cndmask_b32 v52, v52, v54
	v_cmp_gt_i64_e32 vcc_lo, 0, v[78:79]
	v_sub_nc_u64_e32 v[54:55], 0, v[78:79]
	s_and_b32 vcc_lo, s16, vcc_lo
	v_dual_cndmask_b32 v54, v78, v54 :: v_dual_cndmask_b32 v55, v79, v55
	s_delay_alu instid0(VALU_DEP_1) | instskip(NEXT) | instid1(VALU_DEP_1)
	v_mov_b32_e32 v2, v54
	v_mul_u64_e32 v[78:79], v[2:3], v[76:77]
	s_delay_alu instid0(VALU_DEP_1) | instskip(NEXT) | instid1(VALU_DEP_1)
	v_mov_b32_e32 v2, v79
	v_mad_nc_u64_u32 v[78:79], v55, v58, v[2:3]
	s_delay_alu instid0(VALU_DEP_1) | instskip(SKIP_1) | instid1(VALU_DEP_2)
	v_dual_mov_b32 v2, v78 :: v_dual_mov_b32 v78, v79
	v_mov_b32_e32 v79, v3
	v_mad_nc_u64_u32 v[88:89], v54, v59, v[2:3]
	s_delay_alu instid0(VALU_DEP_2) | instskip(NEXT) | instid1(VALU_DEP_2)
	v_mad_nc_u64_u32 v[78:79], v55, v59, v[78:79]
	v_mov_b32_e32 v2, v89
	s_delay_alu instid0(VALU_DEP_1) | instskip(NEXT) | instid1(VALU_DEP_1)
	v_add_nc_u64_e32 v[78:79], v[78:79], v[2:3]
	v_mul_u64_e32 v[88:89], s[20:21], v[78:79]
	s_delay_alu instid0(VALU_DEP_1) | instskip(NEXT) | instid1(VALU_DEP_1)
	v_sub_nc_u64_e32 v[54:55], v[54:55], v[88:89]
	v_cmp_le_u64_e64 s13, s[20:21], v[54:55]
	v_mov_b32_e32 v55, s21
	s_delay_alu instid0(VALU_DEP_2) | instskip(NEXT) | instid1(VALU_DEP_1)
	v_cndmask_b32_e64 v54, 0, 1, s13
	v_add_nc_u64_e32 v[54:55], v[78:79], v[54:55]
	s_delay_alu instid0(VALU_DEP_1) | instskip(NEXT) | instid1(VALU_DEP_1)
	v_sub_nc_u64_e32 v[78:79], 0, v[54:55]
	v_dual_cndmask_b32 v55, v55, v79 :: v_dual_cndmask_b32 v54, v54, v78
	s_clause 0x3
	global_store_b128 v[62:63], v[8:11], off th:TH_STORE_NT
	global_store_b128 v[62:63], v[12:15], off offset:512 th:TH_STORE_NT
	global_store_b128 v[62:63], v[16:19], off offset:1024 th:TH_STORE_NT
	;; [unrolled: 1-line block ×3, first 2 shown]
	s_clause 0x3
	global_store_b128 v[74:75], v[8:11], off th:TH_STORE_NT
	global_store_b128 v[74:75], v[12:15], off offset:512 th:TH_STORE_NT
	global_store_b128 v[74:75], v[16:19], off offset:1024 th:TH_STORE_NT
	;; [unrolled: 1-line block ×3, first 2 shown]
	s_wait_xcnt 0x4
	v_add_nc_u64_e32 v[62:63], v[62:63], v[82:83]
	s_wait_xcnt 0x0
	v_add_nc_u64_e32 v[74:75], v[74:75], v[82:83]
	v_cmp_gt_i32_e32 vcc_lo, 1, v23
	s_or_b32 s15, vcc_lo, s15
	s_delay_alu instid0(SALU_CYCLE_1)
	s_and_not1_b32 exec_lo, exec_lo, s15
	s_cbranch_execnz .LBB6_586
; %bb.587:                              ;   in Loop: Header=BB6_497 Depth=2
	s_or_b32 exec_lo, exec_lo, s15
.LBB6_588:                              ;   in Loop: Header=BB6_497 Depth=2
	s_delay_alu instid0(SALU_CYCLE_1) | instskip(SKIP_2) | instid1(VALU_DEP_1)
	s_or_b32 exec_lo, exec_lo, s14
	v_lshlrev_b32_e32 v62, 11, v22
	s_mov_b32 s44, exec_lo
                                        ; implicit-def: $vgpr126
                                        ; implicit-def: $vgpr125
                                        ; implicit-def: $vgpr2
                                        ; implicit-def: $vgpr22
	v_cmpx_ne_u32_e64 v41, v62
	s_cbranch_execz .LBB6_603
; %bb.589:                              ;   in Loop: Header=BB6_497 Depth=2
	v_mov_b64_e32 v[12:13], -1
	s_cmp_lt_i32 s20, 1
	s_cbranch_scc1 .LBB6_594
; %bb.590:                              ;   in Loop: Header=BB6_497 Depth=2
	s_cmp_lg_u32 s20, 1
	s_cbranch_scc1 .LBB6_592
; %bb.591:                              ;   in Loop: Header=BB6_497 Depth=2
	s_mov_b64 s[16:17], 0x8000000000000000
	s_mov_b64 s[14:15], 1
	s_branch .LBB6_593
.LBB6_592:                              ;   in Loop: Header=BB6_497 Depth=2
	s_mov_b64 s[14:15], 3
	s_mov_b64 s[16:17], 0
.LBB6_593:                              ;   in Loop: Header=BB6_497 Depth=2
	v_cmp_lt_u64_e64 s13, s[14:15], s[20:21]
	s_or_b64 s[78:79], s[16:17], 2.0
	s_mov_b32 s15, s21
	s_and_b32 s13, s13, exec_lo
	s_cselect_b32 s13, 0, s20
	s_cselect_b32 s17, s17, s79
	;; [unrolled: 1-line block ×3, first 2 shown]
	s_sub_co_i32 s13, s14, s13
	s_or_b64 s[78:79], s[16:17], 0x2000000000000000
	s_lshl_b32 s13, s13, 1
	s_delay_alu instid0(SALU_CYCLE_1) | instskip(NEXT) | instid1(SALU_CYCLE_1)
	s_or_b32 s14, s13, 1
	v_cmp_lt_u64_e64 s13, s[14:15], s[20:21]
	s_and_b32 s13, s13, exec_lo
	s_cselect_b32 s17, s17, s79
	s_cselect_b32 s16, s16, s78
	s_sub_nc_u64 s[78:79], s[14:15], s[20:21]
	s_delay_alu instid0(SALU_CYCLE_1) | instskip(SKIP_1) | instid1(VALU_DEP_1)
	v_min_u64 v[8:9], s[14:15], s[78:79]
	s_or_b64 s[14:15], s[16:17], 0x1000000000000000
	v_lshlrev_b64_e32 v[8:9], 1, v[8:9]
	s_delay_alu instid0(VALU_DEP_1) | instskip(NEXT) | instid1(VALU_DEP_1)
	v_or_b32_e32 v8, 1, v8
	v_sub_nc_u64_e64 v[10:11], v[8:9], s[20:21]
	v_cmp_gt_u64_e32 vcc_lo, s[20:21], v[8:9]
	s_delay_alu instid0(VALU_DEP_2) | instskip(SKIP_3) | instid1(SALU_CYCLE_1)
	v_min_u64 v[8:9], v[8:9], v[10:11]
	s_and_b32 s13, vcc_lo, exec_lo
	s_cselect_b32 s15, s17, s15
	s_cselect_b32 s14, s16, s14
	s_or_b64 s[16:17], s[14:15], 0x800000000000000
	s_delay_alu instid0(VALU_DEP_1) | instskip(NEXT) | instid1(VALU_DEP_1)
	v_lshlrev_b64_e32 v[8:9], 1, v[8:9]
	v_or_b32_e32 v8, 1, v8
	s_delay_alu instid0(VALU_DEP_1) | instskip(SKIP_1) | instid1(VALU_DEP_2)
	v_sub_nc_u64_e64 v[10:11], v[8:9], s[20:21]
	v_cmp_gt_u64_e32 vcc_lo, s[20:21], v[8:9]
	v_min_u64 v[8:9], v[8:9], v[10:11]
	s_and_b32 s13, vcc_lo, exec_lo
	s_cselect_b32 s15, s15, s17
	s_cselect_b32 s14, s14, s16
	s_delay_alu instid0(SALU_CYCLE_1) | instskip(NEXT) | instid1(VALU_DEP_1)
	s_or_b64 s[16:17], s[14:15], 0x400000000000000
	v_lshlrev_b64_e32 v[8:9], 1, v[8:9]
	s_delay_alu instid0(VALU_DEP_1) | instskip(NEXT) | instid1(VALU_DEP_1)
	v_or_b32_e32 v8, 1, v8
	v_sub_nc_u64_e64 v[10:11], v[8:9], s[20:21]
	v_cmp_gt_u64_e32 vcc_lo, s[20:21], v[8:9]
	s_delay_alu instid0(VALU_DEP_2) | instskip(SKIP_3) | instid1(SALU_CYCLE_1)
	v_min_u64 v[8:9], v[8:9], v[10:11]
	s_and_b32 s13, vcc_lo, exec_lo
	s_cselect_b32 s15, s15, s17
	s_cselect_b32 s14, s14, s16
	s_or_b64 s[16:17], s[14:15], 0x200000000000000
	s_delay_alu instid0(VALU_DEP_1) | instskip(NEXT) | instid1(VALU_DEP_1)
	v_lshlrev_b64_e32 v[8:9], 1, v[8:9]
	v_or_b32_e32 v8, 1, v8
	s_delay_alu instid0(VALU_DEP_1) | instskip(SKIP_1) | instid1(VALU_DEP_2)
	v_sub_nc_u64_e64 v[10:11], v[8:9], s[20:21]
	v_cmp_gt_u64_e32 vcc_lo, s[20:21], v[8:9]
	v_min_u64 v[8:9], v[8:9], v[10:11]
	s_and_b32 s13, vcc_lo, exec_lo
	s_cselect_b32 s15, s15, s17
	s_cselect_b32 s14, s14, s16
	s_delay_alu instid0(SALU_CYCLE_1) | instskip(NEXT) | instid1(VALU_DEP_1)
	;; [unrolled: 23-line block ×29, first 2 shown]
	s_or_b64 s[16:17], s[14:15], 4
	v_lshlrev_b64_e32 v[8:9], 1, v[8:9]
	s_delay_alu instid0(VALU_DEP_1) | instskip(NEXT) | instid1(VALU_DEP_1)
	v_or_b32_e32 v8, 1, v8
	v_sub_nc_u64_e64 v[10:11], v[8:9], s[20:21]
	v_cmp_gt_u64_e32 vcc_lo, s[20:21], v[8:9]
	s_delay_alu instid0(VALU_DEP_2) | instskip(SKIP_3) | instid1(SALU_CYCLE_1)
	v_min_u64 v[8:9], v[8:9], v[10:11]
	s_and_b32 s13, vcc_lo, exec_lo
	s_cselect_b32 s15, s15, s17
	s_cselect_b32 s14, s14, s16
	s_or_b64 s[16:17], s[14:15], 2
	s_delay_alu instid0(VALU_DEP_1) | instskip(NEXT) | instid1(VALU_DEP_1)
	v_lshlrev_b64_e32 v[8:9], 1, v[8:9]
	v_or_b32_e32 v8, 1, v8
	s_delay_alu instid0(VALU_DEP_1) | instskip(SKIP_1) | instid1(VALU_DEP_2)
	v_sub_nc_u64_e64 v[10:11], v[8:9], s[20:21]
	v_cmp_gt_u64_e32 vcc_lo, s[20:21], v[8:9]
	v_min_u64 v[8:9], v[8:9], v[10:11]
	s_and_b32 s13, vcc_lo, exec_lo
	s_cselect_b32 s13, s15, s17
	s_cselect_b32 s14, s14, s16
	v_mov_b32_e32 v13, s13
	s_delay_alu instid0(VALU_DEP_2) | instskip(NEXT) | instid1(VALU_DEP_1)
	v_lshlrev_b64_e32 v[8:9], 1, v[8:9]
	v_or_b32_e32 v8, 1, v8
	s_delay_alu instid0(VALU_DEP_1) | instskip(SKIP_1) | instid1(VALU_DEP_1)
	v_cmp_le_u64_e32 vcc_lo, s[20:21], v[8:9]
	v_cndmask_b32_e64 v2, 0, 1, vcc_lo
	v_or_b32_e32 v12, s14, v2
.LBB6_594:                              ;   in Loop: Header=BB6_497 Depth=2
	v_dual_lshlrev_b32 v2, 5, v23 :: v_dual_sub_nc_u32 v9, v41, v62
	s_mov_b32 s45, exec_lo
	s_delay_alu instid0(VALU_DEP_1) | instskip(NEXT) | instid1(VALU_DEP_1)
	v_dual_sub_nc_u32 v2, v20, v2 :: v_dual_ashrrev_i32 v10, 31, v9
	v_ashrrev_i32_e32 v8, 31, v2
	s_delay_alu instid0(VALU_DEP_1) | instskip(NEXT) | instid1(VALU_DEP_1)
	v_dual_lshrrev_b32 v10, 23, v10 :: v_dual_lshrrev_b32 v8, 27, v8
	v_add_nc_u32_e32 v8, v2, v8
	s_delay_alu instid0(VALU_DEP_1) | instskip(NEXT) | instid1(VALU_DEP_1)
	v_and_b32_e32 v11, 0xffffffe0, v8
	v_dual_add_nc_u32 v10, v9, v10 :: v_dual_sub_nc_u32 v63, v2, v11
	s_delay_alu instid0(VALU_DEP_1) | instskip(SKIP_1) | instid1(VALU_DEP_3)
	v_and_b32_e32 v23, 0xfffffe00, v10
	v_dual_ashrrev_i32 v8, 5, v8 :: v_dual_ashrrev_i32 v10, 9, v10
	v_lshlrev_b32_e32 v2, 4, v63
	s_delay_alu instid0(VALU_DEP_3) | instskip(NEXT) | instid1(VALU_DEP_2)
	v_sub_nc_u32_e32 v72, v9, v23
	v_lshl_add_u32 v2, v8, 9, v2
	s_delay_alu instid0(VALU_DEP_2) | instskip(NEXT) | instid1(VALU_DEP_1)
	v_cmp_lt_i32_e64 s13, 15, v72
	v_add_co_ci_u32_e64 v10, null, 0, v10, s13
	s_delay_alu instid0(VALU_DEP_1) | instskip(NEXT) | instid1(VALU_DEP_1)
	v_dual_sub_nc_u32 v22, v9, v2 :: v_dual_sub_nc_u32 v73, v10, v8
	v_cmpx_lt_i32_e32 15, v22
	s_cbranch_execz .LBB6_600
; %bb.595:                              ;   in Loop: Header=BB6_497 Depth=2
	s_trap 2
	ds_load_b64 v[8:9], v2
	v_dual_add_nc_u32 v10, v2, v62 :: v_dual_mov_b32 v60, v12
	s_cmp_lt_i32 s75, 0
	v_mov_b32_e32 v61, v3
	s_mov_b32 s77, 0
	s_delay_alu instid0(VALU_DEP_2) | instskip(SKIP_1) | instid1(VALU_DEP_1)
	v_ashrrev_i32_e32 v11, 31, v10
	s_cselect_b32 s78, -1, 0
	v_add_nc_u64_e32 v[14:15], v[10:11], v[44:45]
	v_add_nc_u64_e32 v[16:17], v[10:11], v[46:47]
	;; [unrolled: 1-line block ×3, first 2 shown]
	s_wait_dscnt 0x0
	v_add_nc_u64_e32 v[18:19], v[8:9], v[10:11]
.LBB6_596:                              ;   Parent Loop BB6_47 Depth=1
                                        ;     Parent Loop BB6_497 Depth=2
                                        ; =>    This Loop Header: Depth=3
                                        ;         Child Loop BB6_597 Depth 4
	global_load_b128 v[8:11], v[14:15], off th:TH_LOAD_NT
	global_load_b128 v[52:55], v[18:19], off th:TH_LOAD_NT
	s_mov_b64 s[16:17], 0
	s_mov_b32 s79, -1
	s_wait_loadcnt 0x0
	v_add_nc_u64_e32 v[8:9], v[52:53], v[8:9]
	v_add_nc_u64_e32 v[10:11], v[54:55], v[10:11]
	v_mov_b32_e32 v55, v3
	s_delay_alu instid0(VALU_DEP_3) | instskip(SKIP_1) | instid1(VALU_DEP_4)
	v_cmp_gt_i64_e32 vcc_lo, 0, v[8:9]
	v_sub_nc_u64_e32 v[52:53], 0, v[8:9]
	v_cmp_gt_i64_e64 s14, 0, v[10:11]
	v_sub_nc_u64_e32 v[74:75], 0, v[10:11]
	s_and_b32 vcc_lo, s78, vcc_lo
	v_dual_cndmask_b32 v9, v9, v53 :: v_dual_cndmask_b32 v8, v8, v52
	s_and_b32 s14, s78, s14
	s_delay_alu instid0(VALU_DEP_2) | instid1(SALU_CYCLE_1)
	v_dual_cndmask_b32 v11, v11, v75, s14 :: v_dual_cndmask_b32 v10, v10, v74, s14
	s_delay_alu instid0(VALU_DEP_2) | instskip(NEXT) | instid1(VALU_DEP_1)
	v_dual_mov_b32 v2, v8 :: v_dual_mov_b32 v75, v3
	v_mul_u64_e32 v[52:53], v[2:3], v[60:61]
	s_delay_alu instid0(VALU_DEP_1) | instskip(NEXT) | instid1(VALU_DEP_1)
	v_mov_b32_e32 v2, v53
	v_mad_nc_u64_u32 v[52:53], v9, v12, v[2:3]
	s_delay_alu instid0(VALU_DEP_1) | instskip(NEXT) | instid1(VALU_DEP_1)
	v_dual_mov_b32 v2, v52 :: v_dual_mov_b32 v54, v53
	v_mad_nc_u64_u32 v[52:53], v8, v13, v[2:3]
	s_delay_alu instid0(VALU_DEP_2) | instskip(NEXT) | instid1(VALU_DEP_2)
	v_mad_nc_u64_u32 v[54:55], v9, v13, v[54:55]
	v_mov_b32_e32 v2, v53
	s_delay_alu instid0(VALU_DEP_1) | instskip(SKIP_1) | instid1(VALU_DEP_1)
	v_add_nc_u64_e32 v[52:53], v[54:55], v[2:3]
	v_mov_b32_e32 v2, v10
	v_mul_u64_e32 v[54:55], v[2:3], v[60:61]
	s_delay_alu instid0(VALU_DEP_1) | instskip(NEXT) | instid1(VALU_DEP_1)
	v_mov_b32_e32 v2, v55
	v_mad_nc_u64_u32 v[54:55], v11, v12, v[2:3]
	s_delay_alu instid0(VALU_DEP_1) | instskip(NEXT) | instid1(VALU_DEP_1)
	v_dual_mov_b32 v2, v54 :: v_dual_mov_b32 v74, v55
	v_mad_nc_u64_u32 v[54:55], v10, v13, v[2:3]
	s_delay_alu instid0(VALU_DEP_2) | instskip(NEXT) | instid1(VALU_DEP_2)
	v_mad_nc_u64_u32 v[74:75], v11, v13, v[74:75]
	v_mov_b32_e32 v2, v55
	s_delay_alu instid0(VALU_DEP_1) | instskip(SKIP_1) | instid1(VALU_DEP_2)
	v_add_nc_u64_e32 v[54:55], v[74:75], v[2:3]
	v_mul_u64_e32 v[74:75], s[20:21], v[52:53]
	v_mul_u64_e32 v[76:77], s[20:21], v[54:55]
	s_delay_alu instid0(VALU_DEP_2) | instskip(SKIP_1) | instid1(VALU_DEP_3)
	v_sub_nc_u64_e32 v[8:9], v[8:9], v[74:75]
	v_mov_b32_e32 v75, s21
	v_sub_nc_u64_e32 v[10:11], v[10:11], v[76:77]
	s_delay_alu instid0(VALU_DEP_3) | instskip(SKIP_1) | instid1(VALU_DEP_2)
	v_cmp_le_u64_e64 s15, s[20:21], v[8:9]
	v_mov_b32_e32 v77, s21
	v_cndmask_b32_e64 v74, 0, 1, s15
	s_delay_alu instid0(VALU_DEP_4) | instskip(NEXT) | instid1(VALU_DEP_2)
	v_cmp_le_u64_e64 s15, s[20:21], v[10:11]
	v_add_nc_u64_e32 v[8:9], v[52:53], v[74:75]
	s_delay_alu instid0(VALU_DEP_2) | instskip(NEXT) | instid1(VALU_DEP_2)
	v_cndmask_b32_e64 v76, 0, 1, s15
	v_sub_nc_u64_e32 v[52:53], 0, v[8:9]
	s_delay_alu instid0(VALU_DEP_2) | instskip(NEXT) | instid1(VALU_DEP_2)
	v_add_nc_u64_e32 v[10:11], v[54:55], v[76:77]
	v_dual_cndmask_b32 v9, v9, v53 :: v_dual_cndmask_b32 v8, v8, v52
	s_delay_alu instid0(VALU_DEP_2) | instskip(NEXT) | instid1(VALU_DEP_1)
	v_sub_nc_u64_e32 v[54:55], 0, v[10:11]
	v_dual_cndmask_b32 v11, v11, v55, s14 :: v_dual_cndmask_b32 v10, v10, v54, s14
.LBB6_597:                              ;   Parent Loop BB6_47 Depth=1
                                        ;     Parent Loop BB6_497 Depth=2
                                        ;       Parent Loop BB6_596 Depth=3
                                        ; =>      This Inner Loop Header: Depth=4
	s_cmp_eq_u32 s16, 1
	s_cselect_b32 vcc_lo, -1, 0
	s_cmp_eq_u32 s16, 0
	s_wait_xcnt 0x0
	v_dual_cndmask_b32 v53, v17, v59 :: v_dual_cndmask_b32 v52, v16, v58
	s_cselect_b32 s14, -1, 0
	s_and_b32 s15, exec_lo, s79
	s_mov_b64 s[16:17], 1
	s_mov_b32 s79, 0
	v_add_nc_u64_e32 v[54:55], 0x200, v[52:53]
	global_store_b128 v[52:53], v[8:11], off th:TH_STORE_NT
	v_dual_cndmask_b32 v59, v59, v55 :: v_dual_cndmask_b32 v58, v58, v54
	v_dual_cndmask_b32 v17, v17, v55, s14 :: v_dual_cndmask_b32 v16, v16, v54, s14
	s_mov_b32 vcc_lo, s15
	s_cbranch_vccnz .LBB6_597
; %bb.598:                              ;   in Loop: Header=BB6_596 Depth=3
	v_dual_sub_nc_u32 v22, v22, v66 :: v_dual_sub_nc_u32 v73, v73, v48
	s_wait_xcnt 0x2
	v_add_nc_u64_e32 v[14:15], v[14:15], v[98:99]
	s_wait_xcnt 0x1
	v_add_nc_u64_e32 v[18:19], v[18:19], v[98:99]
	v_add_nc_u64_e32 v[16:17], v[16:17], v[86:87]
	v_cmp_gt_i32_e32 vcc_lo, 16, v22
	v_add_nc_u64_e32 v[58:59], v[58:59], v[86:87]
	s_or_b32 s77, vcc_lo, s77
	s_wait_xcnt 0x0
	s_and_not1_b32 exec_lo, exec_lo, s77
	s_cbranch_execnz .LBB6_596
; %bb.599:                              ;   in Loop: Header=BB6_497 Depth=2
	s_or_b32 exec_lo, exec_lo, s77
.LBB6_600:                              ;   in Loop: Header=BB6_497 Depth=2
	s_delay_alu instid0(SALU_CYCLE_1) | instskip(SKIP_3) | instid1(VALU_DEP_1)
	s_or_b32 exec_lo, exec_lo, s45
	v_and_b32_e32 v8, 8, v41
	s_mov_b32 s15, s76
	s_mov_b32 s14, exec_lo
                                        ; implicit-def: $vgpr125
                                        ; implicit-def: $vgpr2
                                        ; implicit-def: $vgpr22
	v_cndmask_b32_e64 v126, v72, v8, s13
	s_delay_alu instid0(VALU_DEP_1)
	v_cmpx_ne_u32_e32 0, v126
	s_cbranch_execz .LBB6_602
; %bb.601:                              ;   in Loop: Header=BB6_497 Depth=2
	v_cmp_lt_i32_e32 vcc_lo, 0, v73
	s_or_b32 s15, s76, exec_lo
	v_sub_nc_u32_e32 v8, v72, v8
	v_cndmask_b32_e32 v2, 0, v48, vcc_lo
	s_delay_alu instid0(VALU_DEP_1) | instskip(NEXT) | instid1(VALU_DEP_1)
	v_dual_cndmask_b32 v8, 0, v8, s13 :: v_dual_sub_nc_u32 v2, v2, v73
	v_add3_u32 v125, v23, v62, v8
	s_delay_alu instid0(VALU_DEP_2) | instskip(NEXT) | instid1(VALU_DEP_1)
	v_lshl_add_u32 v2, v2, 5, v63
	v_ashrrev_i32_e32 v9, 31, v2
	s_delay_alu instid0(VALU_DEP_1) | instskip(NEXT) | instid1(VALU_DEP_1)
	v_lshrrev_b32_e32 v9, 27, v9
	v_add_nc_u32_e32 v9, v2, v9
	s_delay_alu instid0(VALU_DEP_1) | instskip(NEXT) | instid1(VALU_DEP_1)
	v_and_b32_e32 v9, 0xffffffe0, v9
	v_sub_nc_u32_e32 v22, v2, v9
.LBB6_602:                              ;   in Loop: Header=BB6_497 Depth=2
	s_or_b32 exec_lo, exec_lo, s14
	s_delay_alu instid0(SALU_CYCLE_1) | instskip(SKIP_1) | instid1(SALU_CYCLE_1)
	s_and_not1_b32 s13, s76, exec_lo
	s_and_b32 s14, s15, exec_lo
	s_or_b32 s76, s13, s14
.LBB6_603:                              ;   in Loop: Header=BB6_497 Depth=2
	s_or_b32 exec_lo, exec_lo, s44
	s_mov_b64 s[44:45], s[20:21]
	s_and_saveexec_b32 s77, s76
	s_cbranch_execz .LBB6_624
.LBB6_604:                              ;   in Loop: Header=BB6_497 Depth=2
	v_mov_b64_e32 v[8:9], -1
	s_cmp_lt_i32 s20, 1
	s_cbranch_scc1 .LBB6_609
; %bb.605:                              ;   in Loop: Header=BB6_497 Depth=2
	s_cmp_lg_u32 s20, 1
	s_cbranch_scc1 .LBB6_607
; %bb.606:                              ;   in Loop: Header=BB6_497 Depth=2
	s_mov_b64 s[16:17], 0x8000000000000000
	s_mov_b64 s[14:15], 1
	s_branch .LBB6_608
.LBB6_607:                              ;   in Loop: Header=BB6_497 Depth=2
	s_mov_b64 s[14:15], 3
	s_mov_b64 s[16:17], 0
.LBB6_608:                              ;   in Loop: Header=BB6_497 Depth=2
	v_cmp_lt_u64_e64 s13, s[14:15], s[44:45]
	s_or_b64 s[78:79], s[16:17], 2.0
	s_mov_b32 s15, s21
	s_and_b32 s13, s13, exec_lo
	s_cselect_b32 s13, 0, s44
	s_cselect_b32 s17, s17, s79
	s_cselect_b32 s16, s16, s78
	s_sub_co_i32 s13, s14, s13
	s_or_b64 s[78:79], s[16:17], 0x2000000000000000
	s_lshl_b32 s13, s13, 1
	s_delay_alu instid0(SALU_CYCLE_1) | instskip(NEXT) | instid1(SALU_CYCLE_1)
	s_or_b32 s14, s13, 1
	v_cmp_lt_u64_e64 s13, s[14:15], s[44:45]
	s_and_b32 s13, s13, exec_lo
	s_cselect_b32 s17, s17, s79
	s_cselect_b32 s16, s16, s78
	s_sub_nc_u64 s[78:79], s[14:15], s[44:45]
	s_delay_alu instid0(SALU_CYCLE_1) | instskip(SKIP_1) | instid1(VALU_DEP_1)
	v_min_u64 v[8:9], s[14:15], s[78:79]
	s_or_b64 s[14:15], s[16:17], 0x1000000000000000
	v_lshlrev_b64_e32 v[8:9], 1, v[8:9]
	s_delay_alu instid0(VALU_DEP_1) | instskip(NEXT) | instid1(VALU_DEP_1)
	v_or_b32_e32 v8, 1, v8
	v_sub_nc_u64_e64 v[10:11], v[8:9], s[44:45]
	v_cmp_gt_u64_e32 vcc_lo, s[44:45], v[8:9]
	s_delay_alu instid0(VALU_DEP_2) | instskip(SKIP_3) | instid1(SALU_CYCLE_1)
	v_min_u64 v[8:9], v[8:9], v[10:11]
	s_and_b32 s13, vcc_lo, exec_lo
	s_cselect_b32 s15, s17, s15
	s_cselect_b32 s14, s16, s14
	s_or_b64 s[16:17], s[14:15], 0x800000000000000
	s_delay_alu instid0(VALU_DEP_1) | instskip(NEXT) | instid1(VALU_DEP_1)
	v_lshlrev_b64_e32 v[8:9], 1, v[8:9]
	v_or_b32_e32 v8, 1, v8
	s_delay_alu instid0(VALU_DEP_1) | instskip(SKIP_1) | instid1(VALU_DEP_2)
	v_sub_nc_u64_e64 v[10:11], v[8:9], s[44:45]
	v_cmp_gt_u64_e32 vcc_lo, s[44:45], v[8:9]
	v_min_u64 v[8:9], v[8:9], v[10:11]
	s_and_b32 s13, vcc_lo, exec_lo
	s_cselect_b32 s15, s15, s17
	s_cselect_b32 s14, s14, s16
	s_delay_alu instid0(SALU_CYCLE_1) | instskip(NEXT) | instid1(VALU_DEP_1)
	s_or_b64 s[16:17], s[14:15], 0x400000000000000
	v_lshlrev_b64_e32 v[8:9], 1, v[8:9]
	s_delay_alu instid0(VALU_DEP_1) | instskip(NEXT) | instid1(VALU_DEP_1)
	v_or_b32_e32 v8, 1, v8
	v_sub_nc_u64_e64 v[10:11], v[8:9], s[44:45]
	v_cmp_gt_u64_e32 vcc_lo, s[44:45], v[8:9]
	s_delay_alu instid0(VALU_DEP_2) | instskip(SKIP_3) | instid1(SALU_CYCLE_1)
	v_min_u64 v[8:9], v[8:9], v[10:11]
	s_and_b32 s13, vcc_lo, exec_lo
	s_cselect_b32 s15, s15, s17
	s_cselect_b32 s14, s14, s16
	s_or_b64 s[16:17], s[14:15], 0x200000000000000
	s_delay_alu instid0(VALU_DEP_1) | instskip(NEXT) | instid1(VALU_DEP_1)
	v_lshlrev_b64_e32 v[8:9], 1, v[8:9]
	v_or_b32_e32 v8, 1, v8
	s_delay_alu instid0(VALU_DEP_1) | instskip(SKIP_1) | instid1(VALU_DEP_2)
	v_sub_nc_u64_e64 v[10:11], v[8:9], s[44:45]
	v_cmp_gt_u64_e32 vcc_lo, s[44:45], v[8:9]
	v_min_u64 v[8:9], v[8:9], v[10:11]
	s_and_b32 s13, vcc_lo, exec_lo
	s_cselect_b32 s15, s15, s17
	s_cselect_b32 s14, s14, s16
	s_delay_alu instid0(SALU_CYCLE_1) | instskip(NEXT) | instid1(VALU_DEP_1)
	;; [unrolled: 23-line block ×29, first 2 shown]
	s_or_b64 s[16:17], s[14:15], 4
	v_lshlrev_b64_e32 v[8:9], 1, v[8:9]
	s_delay_alu instid0(VALU_DEP_1) | instskip(NEXT) | instid1(VALU_DEP_1)
	v_or_b32_e32 v8, 1, v8
	v_sub_nc_u64_e64 v[10:11], v[8:9], s[44:45]
	v_cmp_gt_u64_e32 vcc_lo, s[44:45], v[8:9]
	s_delay_alu instid0(VALU_DEP_2) | instskip(SKIP_3) | instid1(SALU_CYCLE_1)
	v_min_u64 v[8:9], v[8:9], v[10:11]
	s_and_b32 s13, vcc_lo, exec_lo
	s_cselect_b32 s15, s15, s17
	s_cselect_b32 s14, s14, s16
	s_or_b64 s[16:17], s[14:15], 2
	s_delay_alu instid0(VALU_DEP_1) | instskip(NEXT) | instid1(VALU_DEP_1)
	v_lshlrev_b64_e32 v[8:9], 1, v[8:9]
	v_or_b32_e32 v8, 1, v8
	s_delay_alu instid0(VALU_DEP_1) | instskip(SKIP_1) | instid1(VALU_DEP_2)
	v_sub_nc_u64_e64 v[10:11], v[8:9], s[44:45]
	v_cmp_gt_u64_e32 vcc_lo, s[44:45], v[8:9]
	v_min_u64 v[8:9], v[8:9], v[10:11]
	s_and_b32 s13, vcc_lo, exec_lo
	s_cselect_b32 s13, s15, s17
	s_cselect_b32 s14, s14, s16
	s_delay_alu instid0(VALU_DEP_1) | instskip(NEXT) | instid1(VALU_DEP_1)
	v_lshlrev_b64_e32 v[8:9], 1, v[8:9]
	v_or_b32_e32 v8, 1, v8
	s_delay_alu instid0(VALU_DEP_1) | instskip(SKIP_2) | instid1(VALU_DEP_1)
	v_cmp_le_u64_e32 vcc_lo, s[44:45], v[8:9]
	v_mov_b32_e32 v9, s13
	v_cndmask_b32_e64 v8, 0, 1, vcc_lo
	v_or_b32_e32 v8, s14, v8
.LBB6_609:                              ;   in Loop: Header=BB6_497 Depth=2
	v_ashrrev_i32_e32 v11, 31, v126
	v_ashrrev_i32_e32 v10, 31, v2
	s_mov_b32 s76, exec_lo
	s_delay_alu instid0(VALU_DEP_1) | instskip(NEXT) | instid1(VALU_DEP_1)
	v_dual_lshrrev_b32 v11, 22, v11 :: v_dual_lshrrev_b32 v10, 27, v10
	v_add_nc_u32_e32 v2, v2, v10
	s_delay_alu instid0(VALU_DEP_2) | instskip(NEXT) | instid1(VALU_DEP_1)
	v_add_nc_u32_e32 v10, v126, v11
	v_ashrrev_i32_e32 v110, 10, v10
	s_delay_alu instid0(VALU_DEP_3) | instskip(NEXT) | instid1(VALU_DEP_1)
	v_ashrrev_i32_e32 v2, 5, v2
	v_sub_nc_u32_e32 v23, v110, v2
	s_delay_alu instid0(VALU_DEP_1)
	v_cmpx_lt_i32_e32 0, v23
	s_cbranch_execz .LBB6_613
; %bb.610:                              ;   in Loop: Header=BB6_497 Depth=2
	s_trap 2
	ds_load_b64 v[14:15], v2
	v_lshlrev_b32_e32 v2, 10, v2
	v_dual_lshlrev_b32 v10, 3, v22 :: v_dual_mov_b32 v18, v8
	v_mov_b32_e32 v19, v3
	s_cmp_lt_i32 s75, 0
	s_mov_b32 s78, 0
	s_delay_alu instid0(VALU_DEP_2) | instskip(SKIP_1) | instid1(VALU_DEP_1)
	v_add3_u32 v16, v125, v10, v2
	s_cselect_b32 s79, -1, 0
	v_ashrrev_i32_e32 v17, 31, v16
	s_delay_alu instid0(VALU_DEP_1)
	v_add_nc_u64_e32 v[10:11], v[16:17], v[44:45]
	v_add_nc_u64_e32 v[12:13], v[16:17], v[46:47]
	s_wait_dscnt 0x0
	v_add_nc_u64_e32 v[14:15], v[14:15], v[16:17]
	v_add_nc_u64_e32 v[16:17], v[16:17], v[56:57]
.LBB6_611:                              ;   Parent Loop BB6_47 Depth=1
                                        ;     Parent Loop BB6_497 Depth=2
                                        ; =>    This Inner Loop Header: Depth=3
	flat_load_b64 v[60:61], v[14:15] th:TH_LOAD_NT
	s_clause 0x1
	flat_load_b64 v[72:73], v[10:11] th:TH_LOAD_NT
	flat_load_b64 v[74:75], v[10:11] offset:256 th:TH_LOAD_NT
	s_clause 0x1
	flat_load_b64 v[76:77], v[14:15] offset:256 th:TH_LOAD_NT
	flat_load_b64 v[78:79], v[14:15] offset:512 th:TH_LOAD_NT
	s_clause 0x1
	flat_load_b64 v[88:89], v[10:11] offset:512 th:TH_LOAD_NT
	flat_load_b64 v[90:91], v[10:11] offset:768 th:TH_LOAD_NT
	;; [unrolled: 1-line block ×3, first 2 shown]
	v_dual_mov_b32 v59, v3 :: v_dual_mov_b32 v63, s21
	v_dual_mov_b32 v105, v3 :: v_dual_mov_b32 v95, s21
	;; [unrolled: 1-line block ×3, first 2 shown]
	v_dual_sub_nc_u32 v23, v23, v48 :: v_dual_mov_b32 v55, s21
	s_wait_xcnt 0x1
	v_add_nc_u64_e32 v[10:11], v[10:11], v[68:69]
	s_wait_xcnt 0x0
	v_add_nc_u64_e32 v[14:15], v[14:15], v[68:69]
	v_cmp_gt_i32_e32 vcc_lo, 1, v23
	s_wait_loadcnt_dscnt 0x606
	v_add_nc_u64_e32 v[60:61], v[60:61], v[72:73]
	s_wait_loadcnt_dscnt 0x404
	v_add_nc_u64_e32 v[72:73], v[76:77], v[74:75]
	s_wait_loadcnt_dscnt 0x202
	v_add_nc_u64_e32 v[74:75], v[78:79], v[88:89]
	s_wait_loadcnt_dscnt 0x0
	v_add_nc_u64_e32 v[76:77], v[92:93], v[90:91]
	v_cmp_gt_i64_e64 s13, 0, v[60:61]
	v_sub_nc_u64_e32 v[78:79], 0, v[60:61]
	v_cmp_gt_i64_e64 s14, 0, v[72:73]
	v_sub_nc_u64_e32 v[88:89], 0, v[72:73]
	;; [unrolled: 2-line block ×4, first 2 shown]
	s_and_b32 s13, s79, s13
	s_delay_alu instid0(SALU_CYCLE_1)
	v_dual_mov_b32 v53, v3 :: v_dual_cndmask_b32 v61, v61, v79, s13
	s_and_b32 s14, s79, s14
	s_and_b32 s15, s79, s15
	;; [unrolled: 1-line block ×3, first 2 shown]
	v_dual_cndmask_b32 v73, v73, v89, s14 :: v_dual_cndmask_b32 v75, v75, v91, s15
	v_dual_cndmask_b32 v77, v77, v93, s16 :: v_dual_cndmask_b32 v60, v60, v78, s13
	;; [unrolled: 1-line block ×3, first 2 shown]
	s_or_b32 s78, vcc_lo, s78
	s_delay_alu instid0(VALU_DEP_2) | instskip(NEXT) | instid1(VALU_DEP_1)
	v_mov_b32_e32 v2, v60
	v_mul_u64_e32 v[78:79], v[2:3], v[18:19]
	s_delay_alu instid0(VALU_DEP_1) | instskip(NEXT) | instid1(VALU_DEP_1)
	v_dual_cndmask_b32 v76, v76, v92, s16 :: v_dual_mov_b32 v2, v79
	v_mad_nc_u64_u32 v[78:79], v61, v8, v[2:3]
	s_delay_alu instid0(VALU_DEP_1) | instskip(NEXT) | instid1(VALU_DEP_1)
	v_dual_mov_b32 v2, v78 :: v_dual_mov_b32 v58, v79
	v_mad_nc_u64_u32 v[78:79], v60, v9, v[2:3]
	s_delay_alu instid0(VALU_DEP_2) | instskip(NEXT) | instid1(VALU_DEP_2)
	v_mad_nc_u64_u32 v[58:59], v61, v9, v[58:59]
	v_mov_b32_e32 v2, v79
	s_delay_alu instid0(VALU_DEP_1) | instskip(NEXT) | instid1(VALU_DEP_1)
	v_add_nc_u64_e32 v[58:59], v[58:59], v[2:3]
	v_mul_u64_e32 v[88:89], s[44:45], v[58:59]
	s_delay_alu instid0(VALU_DEP_1) | instskip(NEXT) | instid1(VALU_DEP_1)
	v_sub_nc_u64_e32 v[60:61], v[60:61], v[88:89]
	v_cmp_le_u64_e64 s17, s[44:45], v[60:61]
	s_delay_alu instid0(VALU_DEP_1) | instskip(NEXT) | instid1(VALU_DEP_1)
	v_cndmask_b32_e64 v62, 0, 1, s17
	v_add_nc_u64_e32 v[58:59], v[58:59], v[62:63]
	s_delay_alu instid0(VALU_DEP_1) | instskip(NEXT) | instid1(VALU_DEP_1)
	v_sub_nc_u64_e32 v[62:63], 0, v[58:59]
	v_dual_mov_b32 v2, v72 :: v_dual_cndmask_b32 v59, v59, v63, s13
	s_delay_alu instid0(VALU_DEP_1) | instskip(NEXT) | instid1(VALU_DEP_1)
	v_mul_u64_e32 v[78:79], v[2:3], v[18:19]
	v_dual_cndmask_b32 v58, v58, v62, s13 :: v_dual_mov_b32 v2, v79
	s_delay_alu instid0(VALU_DEP_1) | instskip(NEXT) | instid1(VALU_DEP_1)
	v_mad_nc_u64_u32 v[78:79], v73, v8, v[2:3]
	v_dual_mov_b32 v2, v78 :: v_dual_mov_b32 v104, v79
	s_delay_alu instid0(VALU_DEP_1) | instskip(NEXT) | instid1(VALU_DEP_2)
	v_mad_nc_u64_u32 v[60:61], v72, v9, v[2:3]
	v_mad_nc_u64_u32 v[78:79], v73, v9, v[104:105]
	s_delay_alu instid0(VALU_DEP_2) | instskip(NEXT) | instid1(VALU_DEP_1)
	v_mov_b32_e32 v2, v61
	v_add_nc_u64_e32 v[60:61], v[78:79], v[2:3]
	v_mov_b32_e32 v2, v74
	s_delay_alu instid0(VALU_DEP_1) | instskip(NEXT) | instid1(VALU_DEP_3)
	v_mul_u64_e32 v[62:63], v[2:3], v[18:19]
	v_mul_u64_e32 v[78:79], s[44:45], v[60:61]
	s_delay_alu instid0(VALU_DEP_2) | instskip(NEXT) | instid1(VALU_DEP_2)
	v_mov_b32_e32 v2, v63
	v_sub_nc_u64_e32 v[62:63], v[72:73], v[78:79]
	s_delay_alu instid0(VALU_DEP_2) | instskip(NEXT) | instid1(VALU_DEP_2)
	v_mad_nc_u64_u32 v[72:73], v75, v8, v[2:3]
	v_cmp_le_u64_e64 s13, s[44:45], v[62:63]
	s_delay_alu instid0(VALU_DEP_1) | instskip(NEXT) | instid1(VALU_DEP_3)
	v_cndmask_b32_e64 v94, 0, 1, s13
	v_dual_mov_b32 v2, v72 :: v_dual_mov_b32 v108, v73
	s_delay_alu instid0(VALU_DEP_2) | instskip(NEXT) | instid1(VALU_DEP_2)
	v_add_nc_u64_e32 v[60:61], v[60:61], v[94:95]
	v_mad_nc_u64_u32 v[62:63], v74, v9, v[2:3]
	s_delay_alu instid0(VALU_DEP_3) | instskip(NEXT) | instid1(VALU_DEP_3)
	v_mad_nc_u64_u32 v[78:79], v75, v9, v[108:109]
	v_sub_nc_u64_e32 v[72:73], 0, v[60:61]
	s_delay_alu instid0(VALU_DEP_1) | instskip(NEXT) | instid1(VALU_DEP_2)
	v_dual_mov_b32 v2, v63 :: v_dual_cndmask_b32 v61, v61, v73, s14
	v_cndmask_b32_e64 v60, v60, v72, s14
	flat_store_b64 v[12:13], v[58:59] th:TH_STORE_NT
	v_add_nc_u64_e32 v[62:63], v[78:79], v[2:3]
	v_mov_b32_e32 v2, v76
	flat_store_b64 v[12:13], v[60:61] offset:256 th:TH_STORE_NT
	v_mul_u64_e32 v[72:73], v[2:3], v[18:19]
	v_mul_u64_e32 v[78:79], s[44:45], v[62:63]
	s_delay_alu instid0(VALU_DEP_2) | instskip(NEXT) | instid1(VALU_DEP_2)
	v_mov_b32_e32 v2, v73
	v_sub_nc_u64_e32 v[74:75], v[74:75], v[78:79]
	s_delay_alu instid0(VALU_DEP_2) | instskip(NEXT) | instid1(VALU_DEP_2)
	v_mad_nc_u64_u32 v[72:73], v77, v8, v[2:3]
	v_cmp_le_u64_e64 s13, s[44:45], v[74:75]
	s_delay_alu instid0(VALU_DEP_1) | instskip(NEXT) | instid1(VALU_DEP_3)
	v_cndmask_b32_e64 v106, 0, 1, s13
	v_dual_mov_b32 v2, v72 :: v_dual_mov_b32 v52, v73
	s_delay_alu instid0(VALU_DEP_2) | instskip(NEXT) | instid1(VALU_DEP_2)
	v_add_nc_u64_e32 v[62:63], v[62:63], v[106:107]
	v_mad_nc_u64_u32 v[72:73], v76, v9, v[2:3]
	s_delay_alu instid0(VALU_DEP_3) | instskip(NEXT) | instid1(VALU_DEP_3)
	v_mad_nc_u64_u32 v[52:53], v77, v9, v[52:53]
	v_sub_nc_u64_e32 v[74:75], 0, v[62:63]
	s_delay_alu instid0(VALU_DEP_1) | instskip(NEXT) | instid1(VALU_DEP_2)
	v_dual_mov_b32 v2, v73 :: v_dual_cndmask_b32 v63, v63, v75, s15
	v_cndmask_b32_e64 v62, v62, v74, s15
	s_delay_alu instid0(VALU_DEP_2) | instskip(NEXT) | instid1(VALU_DEP_1)
	v_add_nc_u64_e32 v[52:53], v[52:53], v[2:3]
	v_mul_u64_e32 v[72:73], s[44:45], v[52:53]
	s_delay_alu instid0(VALU_DEP_1) | instskip(NEXT) | instid1(VALU_DEP_1)
	v_sub_nc_u64_e32 v[72:73], v[76:77], v[72:73]
	v_cmp_le_u64_e64 s13, s[44:45], v[72:73]
	s_delay_alu instid0(VALU_DEP_1) | instskip(NEXT) | instid1(VALU_DEP_1)
	v_cndmask_b32_e64 v54, 0, 1, s13
	v_add_nc_u64_e32 v[52:53], v[52:53], v[54:55]
	s_delay_alu instid0(VALU_DEP_1) | instskip(NEXT) | instid1(VALU_DEP_1)
	v_sub_nc_u64_e32 v[54:55], 0, v[52:53]
	v_dual_cndmask_b32 v53, v53, v55, s16 :: v_dual_cndmask_b32 v52, v52, v54, s16
	s_clause 0x1
	flat_store_b64 v[12:13], v[62:63] offset:512 th:TH_STORE_NT
	flat_store_b64 v[12:13], v[52:53] offset:768 th:TH_STORE_NT
	s_clause 0x3
	flat_store_b64 v[16:17], v[58:59] th:TH_STORE_NT
	flat_store_b64 v[16:17], v[60:61] offset:256 th:TH_STORE_NT
	flat_store_b64 v[16:17], v[62:63] offset:512 th:TH_STORE_NT
	;; [unrolled: 1-line block ×3, first 2 shown]
	s_wait_xcnt 0x4
	v_add_nc_u64_e32 v[12:13], v[12:13], v[68:69]
	s_wait_xcnt 0x0
	v_add_nc_u64_e32 v[16:17], v[16:17], v[68:69]
	s_and_not1_b32 exec_lo, exec_lo, s78
	s_cbranch_execnz .LBB6_611
; %bb.612:                              ;   in Loop: Header=BB6_497 Depth=2
	s_or_b32 exec_lo, exec_lo, s78
.LBB6_613:                              ;   in Loop: Header=BB6_497 Depth=2
	s_delay_alu instid0(SALU_CYCLE_1) | instskip(SKIP_1) | instid1(VALU_DEP_1)
	s_or_b32 exec_lo, exec_lo, s76
	v_lshlrev_b32_e32 v2, 10, v110
	v_cmp_ne_u32_e32 vcc_lo, v126, v2
	s_and_b32 exec_lo, exec_lo, vcc_lo
	s_cbranch_execz .LBB6_624
; %bb.614:                              ;   in Loop: Header=BB6_497 Depth=2
	v_mov_b64_e32 v[8:9], -1
	s_cmp_lt_i32 s20, 1
	s_cbranch_scc1 .LBB6_619
; %bb.615:                              ;   in Loop: Header=BB6_497 Depth=2
	s_cmp_lg_u32 s20, 1
	s_cbranch_scc1 .LBB6_617
; %bb.616:                              ;   in Loop: Header=BB6_497 Depth=2
	s_mov_b64 s[16:17], 0x8000000000000000
	s_mov_b64 s[14:15], 1
	s_branch .LBB6_618
.LBB6_617:                              ;   in Loop: Header=BB6_497 Depth=2
	s_mov_b64 s[14:15], 3
	s_mov_b64 s[16:17], 0
.LBB6_618:                              ;   in Loop: Header=BB6_497 Depth=2
	v_cmp_lt_u64_e64 s13, s[14:15], s[44:45]
	s_or_b64 s[78:79], s[16:17], 2.0
	s_and_b32 s13, s13, exec_lo
	s_cselect_b32 s13, 0, s44
	s_cselect_b32 s17, s17, s79
	s_cselect_b32 s16, s16, s78
	s_sub_co_i32 s13, s14, s13
	s_or_b64 s[14:15], s[16:17], 0x2000000000000000
	s_lshl_b32 s13, s13, 1
	s_delay_alu instid0(SALU_CYCLE_1) | instskip(NEXT) | instid1(SALU_CYCLE_1)
	s_or_b32 s20, s13, 1
	v_cmp_lt_u64_e64 s13, s[20:21], s[44:45]
	s_and_b32 s13, s13, exec_lo
	s_cselect_b32 s15, s17, s15
	s_cselect_b32 s14, s16, s14
	s_sub_nc_u64 s[16:17], s[20:21], s[44:45]
	s_delay_alu instid0(SALU_CYCLE_1) | instskip(SKIP_1) | instid1(VALU_DEP_1)
	v_min_u64 v[8:9], s[20:21], s[16:17]
	s_or_b64 s[16:17], s[14:15], 0x1000000000000000
	v_lshlrev_b64_e32 v[8:9], 1, v[8:9]
	s_delay_alu instid0(VALU_DEP_1) | instskip(NEXT) | instid1(VALU_DEP_1)
	v_or_b32_e32 v8, 1, v8
	v_sub_nc_u64_e64 v[10:11], v[8:9], s[44:45]
	v_cmp_gt_u64_e32 vcc_lo, s[44:45], v[8:9]
	s_delay_alu instid0(VALU_DEP_2) | instskip(SKIP_3) | instid1(SALU_CYCLE_1)
	v_min_u64 v[8:9], v[8:9], v[10:11]
	s_and_b32 s13, vcc_lo, exec_lo
	s_cselect_b32 s15, s15, s17
	s_cselect_b32 s14, s14, s16
	s_or_b64 s[16:17], s[14:15], 0x800000000000000
	s_delay_alu instid0(VALU_DEP_1) | instskip(NEXT) | instid1(VALU_DEP_1)
	v_lshlrev_b64_e32 v[8:9], 1, v[8:9]
	v_or_b32_e32 v8, 1, v8
	s_delay_alu instid0(VALU_DEP_1) | instskip(SKIP_1) | instid1(VALU_DEP_2)
	v_sub_nc_u64_e64 v[10:11], v[8:9], s[44:45]
	v_cmp_gt_u64_e32 vcc_lo, s[44:45], v[8:9]
	v_min_u64 v[8:9], v[8:9], v[10:11]
	s_and_b32 s13, vcc_lo, exec_lo
	s_cselect_b32 s15, s15, s17
	s_cselect_b32 s14, s14, s16
	s_delay_alu instid0(SALU_CYCLE_1) | instskip(NEXT) | instid1(VALU_DEP_1)
	s_or_b64 s[16:17], s[14:15], 0x400000000000000
	v_lshlrev_b64_e32 v[8:9], 1, v[8:9]
	s_delay_alu instid0(VALU_DEP_1) | instskip(NEXT) | instid1(VALU_DEP_1)
	v_or_b32_e32 v8, 1, v8
	v_sub_nc_u64_e64 v[10:11], v[8:9], s[44:45]
	v_cmp_gt_u64_e32 vcc_lo, s[44:45], v[8:9]
	s_delay_alu instid0(VALU_DEP_2) | instskip(SKIP_3) | instid1(SALU_CYCLE_1)
	v_min_u64 v[8:9], v[8:9], v[10:11]
	s_and_b32 s13, vcc_lo, exec_lo
	s_cselect_b32 s15, s15, s17
	s_cselect_b32 s14, s14, s16
	s_or_b64 s[16:17], s[14:15], 0x200000000000000
	s_delay_alu instid0(VALU_DEP_1) | instskip(NEXT) | instid1(VALU_DEP_1)
	v_lshlrev_b64_e32 v[8:9], 1, v[8:9]
	v_or_b32_e32 v8, 1, v8
	s_delay_alu instid0(VALU_DEP_1) | instskip(SKIP_1) | instid1(VALU_DEP_2)
	v_sub_nc_u64_e64 v[10:11], v[8:9], s[44:45]
	v_cmp_gt_u64_e32 vcc_lo, s[44:45], v[8:9]
	v_min_u64 v[8:9], v[8:9], v[10:11]
	s_and_b32 s13, vcc_lo, exec_lo
	s_cselect_b32 s15, s15, s17
	s_cselect_b32 s14, s14, s16
	s_delay_alu instid0(SALU_CYCLE_1) | instskip(NEXT) | instid1(VALU_DEP_1)
	;; [unrolled: 23-line block ×29, first 2 shown]
	s_or_b64 s[16:17], s[14:15], 4
	v_lshlrev_b64_e32 v[8:9], 1, v[8:9]
	s_delay_alu instid0(VALU_DEP_1) | instskip(NEXT) | instid1(VALU_DEP_1)
	v_or_b32_e32 v8, 1, v8
	v_sub_nc_u64_e64 v[10:11], v[8:9], s[44:45]
	v_cmp_gt_u64_e32 vcc_lo, s[44:45], v[8:9]
	s_delay_alu instid0(VALU_DEP_2) | instskip(SKIP_3) | instid1(SALU_CYCLE_1)
	v_min_u64 v[8:9], v[8:9], v[10:11]
	s_and_b32 s13, vcc_lo, exec_lo
	s_cselect_b32 s15, s15, s17
	s_cselect_b32 s14, s14, s16
	s_or_b64 s[16:17], s[14:15], 2
	s_delay_alu instid0(VALU_DEP_1) | instskip(NEXT) | instid1(VALU_DEP_1)
	v_lshlrev_b64_e32 v[8:9], 1, v[8:9]
	v_or_b32_e32 v8, 1, v8
	s_delay_alu instid0(VALU_DEP_1) | instskip(SKIP_1) | instid1(VALU_DEP_2)
	v_sub_nc_u64_e64 v[10:11], v[8:9], s[44:45]
	v_cmp_gt_u64_e32 vcc_lo, s[44:45], v[8:9]
	v_min_u64 v[8:9], v[8:9], v[10:11]
	s_and_b32 s13, vcc_lo, exec_lo
	s_cselect_b32 s13, s15, s17
	s_cselect_b32 s14, s14, s16
	s_delay_alu instid0(VALU_DEP_1) | instskip(NEXT) | instid1(VALU_DEP_1)
	v_lshlrev_b64_e32 v[8:9], 1, v[8:9]
	v_or_b32_e32 v8, 1, v8
	s_delay_alu instid0(VALU_DEP_1) | instskip(SKIP_2) | instid1(VALU_DEP_1)
	v_cmp_le_u64_e32 vcc_lo, s[44:45], v[8:9]
	v_mov_b32_e32 v9, s13
	v_cndmask_b32_e64 v8, 0, 1, vcc_lo
	v_or_b32_e32 v8, s14, v8
.LBB6_619:                              ;   in Loop: Header=BB6_497 Depth=2
	v_lshlrev_b32_e32 v10, 5, v23
	s_delay_alu instid0(VALU_DEP_1) | instskip(NEXT) | instid1(VALU_DEP_1)
	v_sub_nc_u32_e32 v10, v22, v10
	v_ashrrev_i32_e32 v11, 31, v10
	s_delay_alu instid0(VALU_DEP_1) | instskip(NEXT) | instid1(VALU_DEP_1)
	v_lshrrev_b32_e32 v11, 27, v11
	v_add_nc_u32_e32 v11, v10, v11
	s_delay_alu instid0(VALU_DEP_1) | instskip(NEXT) | instid1(VALU_DEP_1)
	v_and_b32_e32 v12, 0x1fffffe0, v11
	v_dual_lshlrev_b32 v11, 3, v11 :: v_dual_sub_nc_u32 v10, v10, v12
	s_delay_alu instid0(VALU_DEP_1) | instskip(NEXT) | instid1(VALU_DEP_1)
	v_and_b32_e32 v11, 0xffffff00, v11
	v_lshl_add_u32 v10, v10, 3, v11
	s_delay_alu instid0(VALU_DEP_1) | instskip(NEXT) | instid1(VALU_DEP_1)
	v_add_nc_u32_e32 v11, v2, v10
	v_sub_nc_u32_e32 v22, v126, v11
	s_delay_alu instid0(VALU_DEP_1)
	v_cmp_lt_i32_e32 vcc_lo, 7, v22
	s_and_b32 exec_lo, exec_lo, vcc_lo
	s_cbranch_execz .LBB6_624
; %bb.620:                              ;   in Loop: Header=BB6_497 Depth=2
	s_trap 2
	ds_load_b64 v[14:15], v2
	v_add3_u32 v16, v2, v125, v10
	v_mov_b32_e32 v19, v3
	s_cmp_lt_i32 s75, 0
	v_mov_b32_e32 v18, v8
	s_mov_b32 s15, 0
	v_ashrrev_i32_e32 v17, 31, v16
	s_cselect_b32 s20, -1, 0
	s_delay_alu instid0(VALU_DEP_1)
	v_add_nc_u64_e32 v[10:11], v[16:17], v[44:45]
	v_add_nc_u64_e32 v[12:13], v[16:17], v[46:47]
	s_wait_dscnt 0x0
	v_add_nc_u64_e32 v[14:15], v[14:15], v[16:17]
	v_add_nc_u64_e32 v[16:17], v[16:17], v[56:57]
.LBB6_621:                              ;   Parent Loop BB6_47 Depth=1
                                        ;     Parent Loop BB6_497 Depth=2
                                        ; =>    This Loop Header: Depth=3
                                        ;         Child Loop BB6_622 Depth 4
	flat_load_b64 v[52:53], v[10:11] th:TH_LOAD_NT
	flat_load_b64 v[54:55], v[14:15] th:TH_LOAD_NT
	s_mov_b64 s[16:17], 0
	s_mov_b32 s75, -1
	v_mov_b32_e32 v59, v3
	s_wait_loadcnt_dscnt 0x0
	v_add_nc_u64_e32 v[52:53], v[54:55], v[52:53]
	s_delay_alu instid0(VALU_DEP_1) | instskip(SKIP_2) | instid1(VALU_DEP_1)
	v_cmp_gt_i64_e32 vcc_lo, 0, v[52:53]
	v_sub_nc_u64_e32 v[54:55], 0, v[52:53]
	s_and_b32 vcc_lo, s20, vcc_lo
	v_dual_cndmask_b32 v53, v53, v55 :: v_dual_cndmask_b32 v52, v52, v54
	s_delay_alu instid0(VALU_DEP_1) | instskip(NEXT) | instid1(VALU_DEP_1)
	v_mov_b32_e32 v2, v52
	v_mul_u64_e32 v[54:55], v[2:3], v[18:19]
	s_delay_alu instid0(VALU_DEP_1) | instskip(NEXT) | instid1(VALU_DEP_1)
	v_mov_b32_e32 v2, v55
	v_mad_nc_u64_u32 v[54:55], v53, v8, v[2:3]
	s_delay_alu instid0(VALU_DEP_1) | instskip(NEXT) | instid1(VALU_DEP_1)
	v_dual_mov_b32 v2, v54 :: v_dual_mov_b32 v58, v55
	v_mad_nc_u64_u32 v[54:55], v52, v9, v[2:3]
	s_delay_alu instid0(VALU_DEP_2) | instskip(NEXT) | instid1(VALU_DEP_2)
	v_mad_nc_u64_u32 v[58:59], v53, v9, v[58:59]
	v_mov_b32_e32 v2, v55
	s_delay_alu instid0(VALU_DEP_1) | instskip(NEXT) | instid1(VALU_DEP_1)
	v_add_nc_u64_e32 v[54:55], v[58:59], v[2:3]
	v_mul_u64_e32 v[58:59], s[44:45], v[54:55]
	s_delay_alu instid0(VALU_DEP_1) | instskip(SKIP_1) | instid1(VALU_DEP_2)
	v_sub_nc_u64_e32 v[52:53], v[52:53], v[58:59]
	v_mov_b32_e32 v59, s21
	v_cmp_le_u64_e64 s13, s[44:45], v[52:53]
	s_delay_alu instid0(VALU_DEP_1) | instskip(NEXT) | instid1(VALU_DEP_1)
	v_cndmask_b32_e64 v58, 0, 1, s13
	v_add_nc_u64_e32 v[52:53], v[54:55], v[58:59]
	s_delay_alu instid0(VALU_DEP_1) | instskip(NEXT) | instid1(VALU_DEP_1)
	v_sub_nc_u64_e32 v[54:55], 0, v[52:53]
	v_dual_cndmask_b32 v59, v53, v55 :: v_dual_cndmask_b32 v58, v52, v54
.LBB6_622:                              ;   Parent Loop BB6_47 Depth=1
                                        ;     Parent Loop BB6_497 Depth=2
                                        ;       Parent Loop BB6_621 Depth=3
                                        ; =>      This Inner Loop Header: Depth=4
	s_cmp_eq_u32 s16, 1
	s_cselect_b32 vcc_lo, -1, 0
	s_cmp_eq_u32 s16, 0
	s_wait_xcnt 0x0
	v_dual_cndmask_b32 v53, v13, v17 :: v_dual_cndmask_b32 v52, v12, v16
	s_cselect_b32 s13, -1, 0
	s_and_b32 s14, exec_lo, s75
	s_mov_b64 s[16:17], 1
	s_mov_b32 s75, 0
	v_add_nc_u64_e32 v[54:55], 0x100, v[52:53]
	flat_store_b64 v[52:53], v[58:59] th:TH_STORE_NT
	v_dual_cndmask_b32 v17, v17, v55 :: v_dual_cndmask_b32 v16, v16, v54
	v_dual_cndmask_b32 v13, v13, v55, s13 :: v_dual_cndmask_b32 v12, v12, v54, s13
	s_mov_b32 vcc_lo, s14
	s_cbranch_vccnz .LBB6_622
; %bb.623:                              ;   in Loop: Header=BB6_621 Depth=3
	v_sub_nc_u32_e32 v22, v22, v70
	s_wait_xcnt 0x2
	v_add_nc_u64_e32 v[10:11], v[10:11], v[100:101]
	s_wait_xcnt 0x1
	v_add_nc_u64_e32 v[14:15], v[14:15], v[100:101]
	v_add_nc_u64_e32 v[12:13], v[12:13], v[96:97]
	;; [unrolled: 1-line block ×3, first 2 shown]
	v_cmp_gt_i32_e32 vcc_lo, 8, v22
	s_or_b32 s15, vcc_lo, s15
	s_wait_xcnt 0x0
	s_and_not1_b32 exec_lo, exec_lo, s15
	s_cbranch_execnz .LBB6_621
.LBB6_624:                              ;   in Loop: Header=BB6_497 Depth=2
	s_or_b32 exec_lo, exec_lo, s77
	s_mov_b32 s13, 0
.LBB6_625:                              ;   in Loop: Header=BB6_497 Depth=2
	s_delay_alu instid0(SALU_CYCLE_1)
	s_and_b32 vcc_lo, exec_lo, s13
	s_cbranch_vccz .LBB6_635
; %bb.626:                              ;   in Loop: Header=BB6_497 Depth=2
	s_mov_b32 s13, -1
	s_and_saveexec_b32 s14, s11
	s_cbranch_execz .LBB6_628
; %bb.627:                              ;   in Loop: Header=BB6_497 Depth=2
	ds_load_b32 v2, v0 offset:720
	s_wait_dscnt 0x0
	v_and_b32_e32 v2, 15, v2
	s_delay_alu instid0(VALU_DEP_1)
	v_cmp_eq_u32_e32 vcc_lo, 0, v2
	s_or_not1_b32 s13, vcc_lo, exec_lo
.LBB6_628:                              ;   in Loop: Header=BB6_497 Depth=2
	s_or_b32 exec_lo, exec_lo, s14
	s_and_saveexec_b32 s14, s7
	s_cbranch_execz .LBB6_630
; %bb.629:                              ;   in Loop: Header=BB6_497 Depth=2
	ds_load_b32 v2, v0 offset:784
	s_wait_dscnt 0x0
	v_and_b32_e32 v2, 15, v2
	s_delay_alu instid0(VALU_DEP_1) | instskip(SKIP_3) | instid1(SALU_CYCLE_1)
	v_cmp_eq_u32_e32 vcc_lo, 0, v2
	s_and_b32 s15, s13, vcc_lo
	s_and_not1_b32 s13, s13, exec_lo
	s_and_b32 s15, s15, exec_lo
	s_or_b32 s13, s13, s15
.LBB6_630:                              ;   in Loop: Header=BB6_497 Depth=2
	s_or_b32 exec_lo, exec_lo, s14
	s_xor_b32 s13, s13, -1
	s_delay_alu instid0(SALU_CYCLE_1) | instskip(SKIP_1) | instid1(VALU_DEP_1)
	v_cndmask_b32_e64 v2, 0, 1, s13
	s_mov_b32 s13, -1
	v_cmp_ne_u32_e32 vcc_lo, 0, v2
	v_alignbit_b32 v2, v56, v56, 1
	s_cbranch_vccz .LBB6_636
; %bb.631:                              ;   in Loop: Header=BB6_497 Depth=2
	s_delay_alu instid0(VALU_DEP_1) | instskip(SKIP_3) | instid1(SALU_CYCLE_1)
	v_readfirstlane_b32 s13, v2
	v_readfirstlane_b32 s75, v2
	s_mov_b32 s76, -1
	s_and_b32 s20, s13, 0x7fffffff
	s_mov_b64 s[44:45], s[20:21]
	v_mov_b32_e32 v76, 0
	s_cbranch_execnz .LBB6_637
.LBB6_632:                              ;   in Loop: Header=BB6_497 Depth=2
	v_readfirstlane_b32 s13, v2
	v_mov_b64_e32 v[56:57], -1
	v_readfirstlane_b32 s75, v2
	s_and_b32 s20, s13, 0x7fffffff
	s_delay_alu instid0(SALU_CYCLE_1)
	s_cmp_lt_i32 s20, 1
	s_cbranch_scc1 .LBB6_640
; %bb.633:                              ;   in Loop: Header=BB6_497 Depth=2
	s_cmp_lg_u32 s20, 1
	s_cbranch_scc1 .LBB6_638
; %bb.634:                              ;   in Loop: Header=BB6_497 Depth=2
	s_mov_b64 s[16:17], 0x8000000000000000
	s_mov_b64 s[14:15], 1
	s_branch .LBB6_639
.LBB6_635:                              ;   in Loop: Header=BB6_497 Depth=2
	v_cmp_lt_i32_e64 s13, 0, v119
	s_and_saveexec_b32 s14, s2
	s_cbranch_execnz .LBB6_677
	s_branch .LBB6_576
.LBB6_636:                              ;   in Loop: Header=BB6_497 Depth=2
	s_mov_b32 s76, 0
                                        ; implicit-def: $sgpr75
                                        ; implicit-def: $sgpr44_sgpr45
	v_mov_b32_e32 v76, 0
	s_and_not1_b32 vcc_lo, exec_lo, s13
	s_cbranch_vccz .LBB6_632
.LBB6_637:                              ;   in Loop: Header=BB6_497 Depth=2
	v_dual_mov_b32 v2, v0 :: v_dual_mov_b32 v22, v20
	s_and_saveexec_b32 s77, s76
	s_cbranch_execnz .LBB6_658
	s_branch .LBB6_676
.LBB6_638:                              ;   in Loop: Header=BB6_497 Depth=2
	s_mov_b64 s[14:15], 3
	s_mov_b64 s[16:17], 0
.LBB6_639:                              ;   in Loop: Header=BB6_497 Depth=2
	v_cmp_lt_u64_e64 s13, s[14:15], s[20:21]
	s_or_b64 s[44:45], s[16:17], 2.0
	s_mov_b32 s15, s21
	s_and_b32 s13, s13, exec_lo
	s_cselect_b32 s13, 0, s20
	s_cselect_b32 s17, s17, s45
	s_cselect_b32 s16, s16, s44
	s_sub_co_i32 s13, s14, s13
	s_or_b64 s[44:45], s[16:17], 0x2000000000000000
	s_lshl_b32 s13, s13, 1
	s_delay_alu instid0(SALU_CYCLE_1) | instskip(NEXT) | instid1(SALU_CYCLE_1)
	s_or_b32 s14, s13, 1
	v_cmp_lt_u64_e64 s13, s[14:15], s[20:21]
	s_and_b32 s13, s13, exec_lo
	s_cselect_b32 s17, s17, s45
	s_cselect_b32 s16, s16, s44
	s_sub_nc_u64 s[44:45], s[14:15], s[20:21]
	s_delay_alu instid0(SALU_CYCLE_1) | instskip(SKIP_1) | instid1(VALU_DEP_1)
	v_min_u64 v[8:9], s[14:15], s[44:45]
	s_or_b64 s[14:15], s[16:17], 0x1000000000000000
	v_lshlrev_b64_e32 v[8:9], 1, v[8:9]
	s_delay_alu instid0(VALU_DEP_1) | instskip(NEXT) | instid1(VALU_DEP_1)
	v_or_b32_e32 v8, 1, v8
	v_sub_nc_u64_e64 v[10:11], v[8:9], s[20:21]
	v_cmp_gt_u64_e32 vcc_lo, s[20:21], v[8:9]
	s_delay_alu instid0(VALU_DEP_2) | instskip(SKIP_3) | instid1(SALU_CYCLE_1)
	v_min_u64 v[8:9], v[8:9], v[10:11]
	s_and_b32 s13, vcc_lo, exec_lo
	s_cselect_b32 s15, s17, s15
	s_cselect_b32 s14, s16, s14
	s_or_b64 s[16:17], s[14:15], 0x800000000000000
	s_delay_alu instid0(VALU_DEP_1) | instskip(NEXT) | instid1(VALU_DEP_1)
	v_lshlrev_b64_e32 v[8:9], 1, v[8:9]
	v_or_b32_e32 v8, 1, v8
	s_delay_alu instid0(VALU_DEP_1) | instskip(SKIP_1) | instid1(VALU_DEP_2)
	v_sub_nc_u64_e64 v[10:11], v[8:9], s[20:21]
	v_cmp_gt_u64_e32 vcc_lo, s[20:21], v[8:9]
	v_min_u64 v[8:9], v[8:9], v[10:11]
	s_and_b32 s13, vcc_lo, exec_lo
	s_cselect_b32 s15, s15, s17
	s_cselect_b32 s14, s14, s16
	s_delay_alu instid0(SALU_CYCLE_1) | instskip(NEXT) | instid1(VALU_DEP_1)
	s_or_b64 s[16:17], s[14:15], 0x400000000000000
	v_lshlrev_b64_e32 v[8:9], 1, v[8:9]
	s_delay_alu instid0(VALU_DEP_1) | instskip(NEXT) | instid1(VALU_DEP_1)
	v_or_b32_e32 v8, 1, v8
	v_sub_nc_u64_e64 v[10:11], v[8:9], s[20:21]
	v_cmp_gt_u64_e32 vcc_lo, s[20:21], v[8:9]
	s_delay_alu instid0(VALU_DEP_2) | instskip(SKIP_3) | instid1(SALU_CYCLE_1)
	v_min_u64 v[8:9], v[8:9], v[10:11]
	s_and_b32 s13, vcc_lo, exec_lo
	s_cselect_b32 s15, s15, s17
	s_cselect_b32 s14, s14, s16
	s_or_b64 s[16:17], s[14:15], 0x200000000000000
	s_delay_alu instid0(VALU_DEP_1) | instskip(NEXT) | instid1(VALU_DEP_1)
	v_lshlrev_b64_e32 v[8:9], 1, v[8:9]
	v_or_b32_e32 v8, 1, v8
	s_delay_alu instid0(VALU_DEP_1) | instskip(SKIP_1) | instid1(VALU_DEP_2)
	v_sub_nc_u64_e64 v[10:11], v[8:9], s[20:21]
	v_cmp_gt_u64_e32 vcc_lo, s[20:21], v[8:9]
	v_min_u64 v[8:9], v[8:9], v[10:11]
	s_and_b32 s13, vcc_lo, exec_lo
	s_cselect_b32 s15, s15, s17
	s_cselect_b32 s14, s14, s16
	s_delay_alu instid0(SALU_CYCLE_1) | instskip(NEXT) | instid1(VALU_DEP_1)
	;; [unrolled: 23-line block ×29, first 2 shown]
	s_or_b64 s[16:17], s[14:15], 4
	v_lshlrev_b64_e32 v[8:9], 1, v[8:9]
	s_delay_alu instid0(VALU_DEP_1) | instskip(NEXT) | instid1(VALU_DEP_1)
	v_or_b32_e32 v8, 1, v8
	v_sub_nc_u64_e64 v[10:11], v[8:9], s[20:21]
	v_cmp_gt_u64_e32 vcc_lo, s[20:21], v[8:9]
	s_delay_alu instid0(VALU_DEP_2) | instskip(SKIP_3) | instid1(SALU_CYCLE_1)
	v_min_u64 v[8:9], v[8:9], v[10:11]
	s_and_b32 s13, vcc_lo, exec_lo
	s_cselect_b32 s15, s15, s17
	s_cselect_b32 s14, s14, s16
	s_or_b64 s[16:17], s[14:15], 2
	s_delay_alu instid0(VALU_DEP_1) | instskip(NEXT) | instid1(VALU_DEP_1)
	v_lshlrev_b64_e32 v[8:9], 1, v[8:9]
	v_or_b32_e32 v8, 1, v8
	s_delay_alu instid0(VALU_DEP_1) | instskip(SKIP_1) | instid1(VALU_DEP_2)
	v_sub_nc_u64_e64 v[10:11], v[8:9], s[20:21]
	v_cmp_gt_u64_e32 vcc_lo, s[20:21], v[8:9]
	v_min_u64 v[8:9], v[8:9], v[10:11]
	s_and_b32 s13, vcc_lo, exec_lo
	s_cselect_b32 s13, s15, s17
	s_cselect_b32 s14, s14, s16
	v_mov_b32_e32 v57, s13
	s_delay_alu instid0(VALU_DEP_2) | instskip(NEXT) | instid1(VALU_DEP_1)
	v_lshlrev_b64_e32 v[8:9], 1, v[8:9]
	v_or_b32_e32 v8, 1, v8
	s_delay_alu instid0(VALU_DEP_1) | instskip(SKIP_1) | instid1(VALU_DEP_1)
	v_cmp_le_u64_e32 vcc_lo, s[20:21], v[8:9]
	v_cndmask_b32_e64 v2, 0, 1, vcc_lo
	v_or_b32_e32 v56, s14, v2
.LBB6_640:                              ;   in Loop: Header=BB6_497 Depth=2
	v_ashrrev_i32_e32 v2, 31, v41
	s_mov_b32 s14, exec_lo
	s_delay_alu instid0(VALU_DEP_1) | instskip(NEXT) | instid1(VALU_DEP_1)
	v_lshrrev_b32_e32 v2, 21, v2
	v_add_nc_u32_e32 v2, v41, v2
	s_delay_alu instid0(VALU_DEP_1) | instskip(NEXT) | instid1(VALU_DEP_1)
	v_ashrrev_i32_e32 v22, 11, v2
	v_sub_nc_u32_e32 v23, v22, v120
	s_delay_alu instid0(VALU_DEP_1)
	v_cmpx_lt_i32_e32 0, v23
	s_cbranch_execz .LBB6_644
; %bb.641:                              ;   in Loop: Header=BB6_497 Depth=2
	s_trap 2
	ds_load_b64 v[8:9], v2
	v_add_nc_u64_e32 v[58:59], v[44:45], v[80:81]
	v_add_nc_u64_e32 v[62:63], v[46:47], v[80:81]
	v_dual_mov_b32 v72, v56 :: v_dual_mov_b32 v73, v3
	s_cmp_lt_i32 s75, 0
	s_mov_b32 s15, 0
	s_cselect_b32 s16, -1, 0
	s_wait_dscnt 0x0
	v_add_nc_u64_e32 v[60:61], v[8:9], v[80:81]
.LBB6_642:                              ;   Parent Loop BB6_47 Depth=1
                                        ;     Parent Loop BB6_497 Depth=2
                                        ; =>    This Inner Loop Header: Depth=3
	s_clause 0x3
	global_load_b128 v[8:11], v[58:59], off th:TH_LOAD_NT
	global_load_b128 v[12:15], v[58:59], off offset:512 th:TH_LOAD_NT
	global_load_b128 v[16:19], v[58:59], off offset:1024 th:TH_LOAD_NT
	;; [unrolled: 1-line block ×3, first 2 shown]
	s_clause 0x3
	global_load_b128 v[88:91], v[60:61], off th:TH_LOAD_NT
	global_load_b128 v[92:95], v[60:61], off offset:512 th:TH_LOAD_NT
	global_load_b128 v[104:107], v[60:61], off offset:1024 th:TH_LOAD_NT
	;; [unrolled: 1-line block ×3, first 2 shown]
	v_sub_nc_u32_e32 v23, v23, v48
	s_wait_xcnt 0x4
	v_add_nc_u64_e32 v[58:59], v[58:59], v[82:83]
	s_wait_xcnt 0x0
	v_add_nc_u64_e32 v[60:61], v[60:61], v[82:83]
	s_wait_loadcnt 0x3
	v_add_nc_u64_e32 v[8:9], v[88:89], v[8:9]
	v_add_nc_u64_e32 v[10:11], v[90:91], v[10:11]
	s_wait_loadcnt 0x2
	v_add_nc_u64_e32 v[12:13], v[92:93], v[12:13]
	s_wait_loadcnt 0x0
	v_add_nc_u64_e32 v[76:77], v[52:53], v[76:77]
	v_add_nc_u64_e32 v[74:75], v[54:55], v[78:79]
	;; [unrolled: 1-line block ×4, first 2 shown]
	v_cmp_gt_i64_e32 vcc_lo, 0, v[8:9]
	v_sub_nc_u64_e32 v[52:53], 0, v[8:9]
	v_add_nc_u64_e32 v[18:19], v[106:107], v[18:19]
	s_and_b32 vcc_lo, s16, vcc_lo
	s_delay_alu instid0(VALU_DEP_2) | instskip(NEXT) | instid1(VALU_DEP_1)
	v_dual_cndmask_b32 v9, v9, v53 :: v_dual_cndmask_b32 v8, v8, v52
	v_mov_b32_e32 v2, v8
	s_delay_alu instid0(VALU_DEP_1) | instskip(NEXT) | instid1(VALU_DEP_1)
	v_mul_u64_e32 v[52:53], v[2:3], v[72:73]
	v_mov_b32_e32 v2, v53
	s_delay_alu instid0(VALU_DEP_1) | instskip(NEXT) | instid1(VALU_DEP_1)
	v_mad_nc_u64_u32 v[52:53], v9, v56, v[2:3]
	v_dual_mov_b32 v2, v52 :: v_dual_mov_b32 v52, v53
	v_mov_b32_e32 v53, v3
	s_delay_alu instid0(VALU_DEP_2) | instskip(NEXT) | instid1(VALU_DEP_2)
	v_mad_nc_u64_u32 v[54:55], v8, v57, v[2:3]
	v_mad_nc_u64_u32 v[52:53], v9, v57, v[52:53]
	s_delay_alu instid0(VALU_DEP_2) | instskip(NEXT) | instid1(VALU_DEP_1)
	v_mov_b32_e32 v2, v55
	v_add_nc_u64_e32 v[52:53], v[52:53], v[2:3]
	s_delay_alu instid0(VALU_DEP_1) | instskip(NEXT) | instid1(VALU_DEP_1)
	v_mul_u64_e32 v[54:55], s[20:21], v[52:53]
	v_sub_nc_u64_e32 v[8:9], v[8:9], v[54:55]
	s_delay_alu instid0(VALU_DEP_1) | instskip(SKIP_1) | instid1(VALU_DEP_2)
	v_cmp_le_u64_e64 s13, s[20:21], v[8:9]
	v_mov_b32_e32 v9, s21
	v_cndmask_b32_e64 v8, 0, 1, s13
	s_delay_alu instid0(VALU_DEP_1) | instskip(NEXT) | instid1(VALU_DEP_1)
	v_add_nc_u64_e32 v[8:9], v[52:53], v[8:9]
	v_sub_nc_u64_e32 v[52:53], 0, v[8:9]
	s_delay_alu instid0(VALU_DEP_1) | instskip(SKIP_3) | instid1(VALU_DEP_1)
	v_dual_cndmask_b32 v9, v9, v53 :: v_dual_cndmask_b32 v8, v8, v52
	v_cmp_gt_i64_e32 vcc_lo, 0, v[10:11]
	v_sub_nc_u64_e32 v[52:53], 0, v[10:11]
	s_and_b32 vcc_lo, s16, vcc_lo
	v_dual_cndmask_b32 v10, v10, v52 :: v_dual_cndmask_b32 v11, v11, v53
	s_delay_alu instid0(VALU_DEP_1) | instskip(NEXT) | instid1(VALU_DEP_1)
	v_mov_b32_e32 v2, v10
	v_mul_u64_e32 v[52:53], v[2:3], v[72:73]
	s_delay_alu instid0(VALU_DEP_1) | instskip(NEXT) | instid1(VALU_DEP_1)
	v_mov_b32_e32 v2, v53
	v_mad_nc_u64_u32 v[52:53], v11, v56, v[2:3]
	s_delay_alu instid0(VALU_DEP_1) | instskip(SKIP_1) | instid1(VALU_DEP_2)
	v_dual_mov_b32 v2, v52 :: v_dual_mov_b32 v52, v53
	v_mov_b32_e32 v53, v3
	v_mad_nc_u64_u32 v[54:55], v10, v57, v[2:3]
	s_delay_alu instid0(VALU_DEP_2) | instskip(NEXT) | instid1(VALU_DEP_2)
	v_mad_nc_u64_u32 v[52:53], v11, v57, v[52:53]
	v_mov_b32_e32 v2, v55
	s_delay_alu instid0(VALU_DEP_1) | instskip(NEXT) | instid1(VALU_DEP_1)
	v_add_nc_u64_e32 v[52:53], v[52:53], v[2:3]
	v_mul_u64_e32 v[54:55], s[20:21], v[52:53]
	s_delay_alu instid0(VALU_DEP_1) | instskip(NEXT) | instid1(VALU_DEP_1)
	v_sub_nc_u64_e32 v[10:11], v[10:11], v[54:55]
	v_cmp_le_u64_e64 s13, s[20:21], v[10:11]
	v_mov_b32_e32 v11, s21
	s_delay_alu instid0(VALU_DEP_2) | instskip(NEXT) | instid1(VALU_DEP_1)
	v_cndmask_b32_e64 v10, 0, 1, s13
	v_add_nc_u64_e32 v[10:11], v[52:53], v[10:11]
	s_delay_alu instid0(VALU_DEP_1) | instskip(NEXT) | instid1(VALU_DEP_1)
	v_sub_nc_u64_e32 v[52:53], 0, v[10:11]
	v_dual_cndmask_b32 v11, v11, v53 :: v_dual_cndmask_b32 v10, v10, v52
	v_cmp_gt_i64_e32 vcc_lo, 0, v[12:13]
	v_sub_nc_u64_e32 v[52:53], 0, v[12:13]
	s_and_b32 vcc_lo, s16, vcc_lo
	s_delay_alu instid0(VALU_DEP_1) | instskip(NEXT) | instid1(VALU_DEP_1)
	v_dual_cndmask_b32 v13, v13, v53 :: v_dual_cndmask_b32 v12, v12, v52
	v_mov_b32_e32 v2, v12
	s_delay_alu instid0(VALU_DEP_1) | instskip(NEXT) | instid1(VALU_DEP_1)
	v_mul_u64_e32 v[52:53], v[2:3], v[72:73]
	v_mov_b32_e32 v2, v53
	s_delay_alu instid0(VALU_DEP_1) | instskip(NEXT) | instid1(VALU_DEP_1)
	v_mad_nc_u64_u32 v[52:53], v13, v56, v[2:3]
	v_dual_mov_b32 v2, v52 :: v_dual_mov_b32 v52, v53
	v_mov_b32_e32 v53, v3
	s_delay_alu instid0(VALU_DEP_2) | instskip(NEXT) | instid1(VALU_DEP_2)
	v_mad_nc_u64_u32 v[54:55], v12, v57, v[2:3]
	v_mad_nc_u64_u32 v[52:53], v13, v57, v[52:53]
	s_delay_alu instid0(VALU_DEP_2) | instskip(NEXT) | instid1(VALU_DEP_1)
	v_mov_b32_e32 v2, v55
	v_add_nc_u64_e32 v[52:53], v[52:53], v[2:3]
	s_delay_alu instid0(VALU_DEP_1) | instskip(NEXT) | instid1(VALU_DEP_1)
	v_mul_u64_e32 v[54:55], s[20:21], v[52:53]
	v_sub_nc_u64_e32 v[12:13], v[12:13], v[54:55]
	s_delay_alu instid0(VALU_DEP_1) | instskip(SKIP_1) | instid1(VALU_DEP_2)
	v_cmp_le_u64_e64 s13, s[20:21], v[12:13]
	v_mov_b32_e32 v13, s21
	v_cndmask_b32_e64 v12, 0, 1, s13
	s_delay_alu instid0(VALU_DEP_1) | instskip(NEXT) | instid1(VALU_DEP_1)
	v_add_nc_u64_e32 v[12:13], v[52:53], v[12:13]
	v_sub_nc_u64_e32 v[52:53], 0, v[12:13]
	s_delay_alu instid0(VALU_DEP_1) | instskip(SKIP_3) | instid1(VALU_DEP_1)
	v_dual_cndmask_b32 v13, v13, v53 :: v_dual_cndmask_b32 v12, v12, v52
	v_cmp_gt_i64_e32 vcc_lo, 0, v[14:15]
	v_sub_nc_u64_e32 v[52:53], 0, v[14:15]
	s_and_b32 vcc_lo, s16, vcc_lo
	v_dual_cndmask_b32 v14, v14, v52 :: v_dual_cndmask_b32 v15, v15, v53
	s_delay_alu instid0(VALU_DEP_1) | instskip(NEXT) | instid1(VALU_DEP_1)
	v_mov_b32_e32 v2, v14
	v_mul_u64_e32 v[52:53], v[2:3], v[72:73]
	s_delay_alu instid0(VALU_DEP_1) | instskip(NEXT) | instid1(VALU_DEP_1)
	v_mov_b32_e32 v2, v53
	v_mad_nc_u64_u32 v[52:53], v15, v56, v[2:3]
	s_delay_alu instid0(VALU_DEP_1) | instskip(SKIP_1) | instid1(VALU_DEP_2)
	v_dual_mov_b32 v2, v52 :: v_dual_mov_b32 v52, v53
	v_mov_b32_e32 v53, v3
	v_mad_nc_u64_u32 v[54:55], v14, v57, v[2:3]
	s_delay_alu instid0(VALU_DEP_2) | instskip(NEXT) | instid1(VALU_DEP_2)
	v_mad_nc_u64_u32 v[52:53], v15, v57, v[52:53]
	v_mov_b32_e32 v2, v55
	s_delay_alu instid0(VALU_DEP_1) | instskip(NEXT) | instid1(VALU_DEP_1)
	v_add_nc_u64_e32 v[52:53], v[52:53], v[2:3]
	v_mul_u64_e32 v[54:55], s[20:21], v[52:53]
	s_delay_alu instid0(VALU_DEP_1) | instskip(NEXT) | instid1(VALU_DEP_1)
	v_sub_nc_u64_e32 v[14:15], v[14:15], v[54:55]
	v_cmp_le_u64_e64 s13, s[20:21], v[14:15]
	v_mov_b32_e32 v15, s21
	s_delay_alu instid0(VALU_DEP_2) | instskip(NEXT) | instid1(VALU_DEP_1)
	v_cndmask_b32_e64 v14, 0, 1, s13
	v_add_nc_u64_e32 v[14:15], v[52:53], v[14:15]
	s_delay_alu instid0(VALU_DEP_1) | instskip(NEXT) | instid1(VALU_DEP_1)
	v_sub_nc_u64_e32 v[52:53], 0, v[14:15]
	v_dual_cndmask_b32 v15, v15, v53 :: v_dual_cndmask_b32 v14, v14, v52
	v_cmp_gt_i64_e32 vcc_lo, 0, v[16:17]
	v_sub_nc_u64_e32 v[52:53], 0, v[16:17]
	s_and_b32 vcc_lo, s16, vcc_lo
	s_delay_alu instid0(VALU_DEP_1) | instskip(NEXT) | instid1(VALU_DEP_1)
	;; [unrolled: 61-line block ×3, first 2 shown]
	v_dual_cndmask_b32 v53, v77, v53 :: v_dual_cndmask_b32 v52, v76, v52
	v_mov_b32_e32 v2, v52
	s_delay_alu instid0(VALU_DEP_1) | instskip(NEXT) | instid1(VALU_DEP_1)
	v_mul_u64_e32 v[54:55], v[2:3], v[72:73]
	v_mov_b32_e32 v2, v55
	s_delay_alu instid0(VALU_DEP_1) | instskip(NEXT) | instid1(VALU_DEP_1)
	v_mad_nc_u64_u32 v[54:55], v53, v56, v[2:3]
	v_dual_mov_b32 v2, v54 :: v_dual_mov_b32 v54, v55
	v_mov_b32_e32 v55, v3
	s_delay_alu instid0(VALU_DEP_2) | instskip(NEXT) | instid1(VALU_DEP_2)
	v_mad_nc_u64_u32 v[76:77], v52, v57, v[2:3]
	v_mad_nc_u64_u32 v[54:55], v53, v57, v[54:55]
	s_delay_alu instid0(VALU_DEP_2) | instskip(NEXT) | instid1(VALU_DEP_1)
	v_mov_b32_e32 v2, v77
	v_add_nc_u64_e32 v[54:55], v[54:55], v[2:3]
	s_delay_alu instid0(VALU_DEP_1) | instskip(NEXT) | instid1(VALU_DEP_1)
	v_mul_u64_e32 v[76:77], s[20:21], v[54:55]
	v_sub_nc_u64_e32 v[52:53], v[52:53], v[76:77]
	s_delay_alu instid0(VALU_DEP_1) | instskip(SKIP_1) | instid1(VALU_DEP_2)
	v_cmp_le_u64_e64 s13, s[20:21], v[52:53]
	v_mov_b32_e32 v53, s21
	v_cndmask_b32_e64 v52, 0, 1, s13
	s_delay_alu instid0(VALU_DEP_1) | instskip(NEXT) | instid1(VALU_DEP_1)
	v_add_nc_u64_e32 v[52:53], v[54:55], v[52:53]
	v_sub_nc_u64_e32 v[54:55], 0, v[52:53]
	s_delay_alu instid0(VALU_DEP_1) | instskip(SKIP_3) | instid1(VALU_DEP_1)
	v_dual_cndmask_b32 v53, v53, v55 :: v_dual_cndmask_b32 v52, v52, v54
	v_cmp_gt_i64_e32 vcc_lo, 0, v[74:75]
	v_sub_nc_u64_e32 v[54:55], 0, v[74:75]
	s_and_b32 vcc_lo, s16, vcc_lo
	v_dual_cndmask_b32 v54, v74, v54 :: v_dual_cndmask_b32 v55, v75, v55
	s_delay_alu instid0(VALU_DEP_1) | instskip(NEXT) | instid1(VALU_DEP_1)
	v_mov_b32_e32 v2, v54
	v_mul_u64_e32 v[74:75], v[2:3], v[72:73]
	s_delay_alu instid0(VALU_DEP_1) | instskip(NEXT) | instid1(VALU_DEP_1)
	v_mov_b32_e32 v2, v75
	v_mad_nc_u64_u32 v[74:75], v55, v56, v[2:3]
	s_delay_alu instid0(VALU_DEP_1) | instskip(SKIP_1) | instid1(VALU_DEP_2)
	v_dual_mov_b32 v2, v74 :: v_dual_mov_b32 v74, v75
	v_mov_b32_e32 v75, v3
	v_mad_nc_u64_u32 v[76:77], v54, v57, v[2:3]
	s_delay_alu instid0(VALU_DEP_2) | instskip(NEXT) | instid1(VALU_DEP_2)
	v_mad_nc_u64_u32 v[74:75], v55, v57, v[74:75]
	v_mov_b32_e32 v2, v77
	s_delay_alu instid0(VALU_DEP_1) | instskip(NEXT) | instid1(VALU_DEP_1)
	v_add_nc_u64_e32 v[74:75], v[74:75], v[2:3]
	v_mul_u64_e32 v[76:77], s[20:21], v[74:75]
	s_delay_alu instid0(VALU_DEP_1) | instskip(NEXT) | instid1(VALU_DEP_1)
	v_sub_nc_u64_e32 v[54:55], v[54:55], v[76:77]
	v_cmp_le_u64_e64 s13, s[20:21], v[54:55]
	v_mov_b32_e32 v55, s21
	s_delay_alu instid0(VALU_DEP_2) | instskip(NEXT) | instid1(VALU_DEP_1)
	v_cndmask_b32_e64 v54, 0, 1, s13
	v_add_nc_u64_e32 v[54:55], v[74:75], v[54:55]
	s_delay_alu instid0(VALU_DEP_1) | instskip(NEXT) | instid1(VALU_DEP_1)
	v_sub_nc_u64_e32 v[74:75], 0, v[54:55]
	v_dual_cndmask_b32 v55, v55, v75 :: v_dual_cndmask_b32 v54, v54, v74
	s_clause 0x3
	global_store_b128 v[62:63], v[8:11], off th:TH_STORE_NT
	global_store_b128 v[62:63], v[12:15], off offset:512 th:TH_STORE_NT
	global_store_b128 v[62:63], v[16:19], off offset:1024 th:TH_STORE_NT
	;; [unrolled: 1-line block ×3, first 2 shown]
	s_wait_xcnt 0x0
	v_add_nc_u64_e32 v[62:63], v[62:63], v[82:83]
	v_cmp_gt_i32_e32 vcc_lo, 1, v23
	s_or_b32 s15, vcc_lo, s15
	s_delay_alu instid0(SALU_CYCLE_1)
	s_and_not1_b32 exec_lo, exec_lo, s15
	s_cbranch_execnz .LBB6_642
; %bb.643:                              ;   in Loop: Header=BB6_497 Depth=2
	s_or_b32 exec_lo, exec_lo, s15
.LBB6_644:                              ;   in Loop: Header=BB6_497 Depth=2
	s_delay_alu instid0(SALU_CYCLE_1) | instskip(SKIP_2) | instid1(VALU_DEP_1)
	s_or_b32 exec_lo, exec_lo, s14
	v_lshlrev_b32_e32 v18, 11, v22
	s_mov_b32 s44, exec_lo
                                        ; implicit-def: $vgpr76
                                        ; implicit-def: $vgpr2
                                        ; implicit-def: $vgpr22
	v_cmpx_ne_u32_e64 v41, v18
	s_cbranch_execz .LBB6_657
; %bb.645:                              ;   in Loop: Header=BB6_497 Depth=2
	v_mov_b64_e32 v[8:9], -1
	s_cmp_lt_i32 s20, 1
	s_cbranch_scc1 .LBB6_650
; %bb.646:                              ;   in Loop: Header=BB6_497 Depth=2
	s_cmp_lg_u32 s20, 1
	s_cbranch_scc1 .LBB6_648
; %bb.647:                              ;   in Loop: Header=BB6_497 Depth=2
	s_mov_b64 s[16:17], 0x8000000000000000
	s_mov_b64 s[14:15], 1
	s_branch .LBB6_649
.LBB6_648:                              ;   in Loop: Header=BB6_497 Depth=2
	s_mov_b64 s[14:15], 3
	s_mov_b64 s[16:17], 0
.LBB6_649:                              ;   in Loop: Header=BB6_497 Depth=2
	v_cmp_lt_u64_e64 s13, s[14:15], s[20:21]
	s_or_b64 s[78:79], s[16:17], 2.0
	s_mov_b32 s15, s21
	s_and_b32 s13, s13, exec_lo
	s_cselect_b32 s13, 0, s20
	s_cselect_b32 s17, s17, s79
	s_cselect_b32 s16, s16, s78
	s_sub_co_i32 s13, s14, s13
	s_or_b64 s[78:79], s[16:17], 0x2000000000000000
	s_lshl_b32 s13, s13, 1
	s_delay_alu instid0(SALU_CYCLE_1) | instskip(NEXT) | instid1(SALU_CYCLE_1)
	s_or_b32 s14, s13, 1
	v_cmp_lt_u64_e64 s13, s[14:15], s[20:21]
	s_and_b32 s13, s13, exec_lo
	s_cselect_b32 s17, s17, s79
	s_cselect_b32 s16, s16, s78
	s_sub_nc_u64 s[78:79], s[14:15], s[20:21]
	s_delay_alu instid0(SALU_CYCLE_1) | instskip(SKIP_1) | instid1(VALU_DEP_1)
	v_min_u64 v[8:9], s[14:15], s[78:79]
	s_or_b64 s[14:15], s[16:17], 0x1000000000000000
	v_lshlrev_b64_e32 v[8:9], 1, v[8:9]
	s_delay_alu instid0(VALU_DEP_1) | instskip(NEXT) | instid1(VALU_DEP_1)
	v_or_b32_e32 v8, 1, v8
	v_sub_nc_u64_e64 v[10:11], v[8:9], s[20:21]
	v_cmp_gt_u64_e32 vcc_lo, s[20:21], v[8:9]
	s_delay_alu instid0(VALU_DEP_2) | instskip(SKIP_3) | instid1(SALU_CYCLE_1)
	v_min_u64 v[8:9], v[8:9], v[10:11]
	s_and_b32 s13, vcc_lo, exec_lo
	s_cselect_b32 s15, s17, s15
	s_cselect_b32 s14, s16, s14
	s_or_b64 s[16:17], s[14:15], 0x800000000000000
	s_delay_alu instid0(VALU_DEP_1) | instskip(NEXT) | instid1(VALU_DEP_1)
	v_lshlrev_b64_e32 v[8:9], 1, v[8:9]
	v_or_b32_e32 v8, 1, v8
	s_delay_alu instid0(VALU_DEP_1) | instskip(SKIP_1) | instid1(VALU_DEP_2)
	v_sub_nc_u64_e64 v[10:11], v[8:9], s[20:21]
	v_cmp_gt_u64_e32 vcc_lo, s[20:21], v[8:9]
	v_min_u64 v[8:9], v[8:9], v[10:11]
	s_and_b32 s13, vcc_lo, exec_lo
	s_cselect_b32 s15, s15, s17
	s_cselect_b32 s14, s14, s16
	s_delay_alu instid0(SALU_CYCLE_1) | instskip(NEXT) | instid1(VALU_DEP_1)
	s_or_b64 s[16:17], s[14:15], 0x400000000000000
	v_lshlrev_b64_e32 v[8:9], 1, v[8:9]
	s_delay_alu instid0(VALU_DEP_1) | instskip(NEXT) | instid1(VALU_DEP_1)
	v_or_b32_e32 v8, 1, v8
	v_sub_nc_u64_e64 v[10:11], v[8:9], s[20:21]
	v_cmp_gt_u64_e32 vcc_lo, s[20:21], v[8:9]
	s_delay_alu instid0(VALU_DEP_2) | instskip(SKIP_3) | instid1(SALU_CYCLE_1)
	v_min_u64 v[8:9], v[8:9], v[10:11]
	s_and_b32 s13, vcc_lo, exec_lo
	s_cselect_b32 s15, s15, s17
	s_cselect_b32 s14, s14, s16
	s_or_b64 s[16:17], s[14:15], 0x200000000000000
	s_delay_alu instid0(VALU_DEP_1) | instskip(NEXT) | instid1(VALU_DEP_1)
	v_lshlrev_b64_e32 v[8:9], 1, v[8:9]
	v_or_b32_e32 v8, 1, v8
	s_delay_alu instid0(VALU_DEP_1) | instskip(SKIP_1) | instid1(VALU_DEP_2)
	v_sub_nc_u64_e64 v[10:11], v[8:9], s[20:21]
	v_cmp_gt_u64_e32 vcc_lo, s[20:21], v[8:9]
	v_min_u64 v[8:9], v[8:9], v[10:11]
	s_and_b32 s13, vcc_lo, exec_lo
	s_cselect_b32 s15, s15, s17
	s_cselect_b32 s14, s14, s16
	s_delay_alu instid0(SALU_CYCLE_1) | instskip(NEXT) | instid1(VALU_DEP_1)
	;; [unrolled: 23-line block ×29, first 2 shown]
	s_or_b64 s[16:17], s[14:15], 4
	v_lshlrev_b64_e32 v[8:9], 1, v[8:9]
	s_delay_alu instid0(VALU_DEP_1) | instskip(NEXT) | instid1(VALU_DEP_1)
	v_or_b32_e32 v8, 1, v8
	v_sub_nc_u64_e64 v[10:11], v[8:9], s[20:21]
	v_cmp_gt_u64_e32 vcc_lo, s[20:21], v[8:9]
	s_delay_alu instid0(VALU_DEP_2) | instskip(SKIP_3) | instid1(SALU_CYCLE_1)
	v_min_u64 v[8:9], v[8:9], v[10:11]
	s_and_b32 s13, vcc_lo, exec_lo
	s_cselect_b32 s15, s15, s17
	s_cselect_b32 s14, s14, s16
	s_or_b64 s[16:17], s[14:15], 2
	s_delay_alu instid0(VALU_DEP_1) | instskip(NEXT) | instid1(VALU_DEP_1)
	v_lshlrev_b64_e32 v[8:9], 1, v[8:9]
	v_or_b32_e32 v8, 1, v8
	s_delay_alu instid0(VALU_DEP_1) | instskip(SKIP_1) | instid1(VALU_DEP_2)
	v_sub_nc_u64_e64 v[10:11], v[8:9], s[20:21]
	v_cmp_gt_u64_e32 vcc_lo, s[20:21], v[8:9]
	v_min_u64 v[8:9], v[8:9], v[10:11]
	s_and_b32 s13, vcc_lo, exec_lo
	s_cselect_b32 s13, s15, s17
	s_cselect_b32 s14, s14, s16
	s_delay_alu instid0(VALU_DEP_1) | instskip(NEXT) | instid1(VALU_DEP_1)
	v_lshlrev_b64_e32 v[8:9], 1, v[8:9]
	v_or_b32_e32 v8, 1, v8
	s_delay_alu instid0(VALU_DEP_1) | instskip(SKIP_2) | instid1(VALU_DEP_1)
	v_cmp_le_u64_e32 vcc_lo, s[20:21], v[8:9]
	v_mov_b32_e32 v9, s13
	v_cndmask_b32_e64 v2, 0, 1, vcc_lo
	v_or_b32_e32 v8, s14, v2
.LBB6_650:                              ;   in Loop: Header=BB6_497 Depth=2
	v_dual_lshlrev_b32 v2, 5, v23 :: v_dual_sub_nc_u32 v11, v41, v18
	s_mov_b32 s16, exec_lo
	s_delay_alu instid0(VALU_DEP_1) | instskip(NEXT) | instid1(VALU_DEP_1)
	v_dual_sub_nc_u32 v2, v20, v2 :: v_dual_ashrrev_i32 v12, 31, v11
	v_dual_ashrrev_i32 v10, 31, v2 :: v_dual_lshrrev_b32 v12, 23, v12
	s_delay_alu instid0(VALU_DEP_1) | instskip(NEXT) | instid1(VALU_DEP_1)
	v_dual_lshrrev_b32 v10, 27, v10 :: v_dual_add_nc_u32 v12, v11, v12
	v_add_nc_u32_e32 v10, v2, v10
	s_delay_alu instid0(VALU_DEP_2) | instskip(SKIP_1) | instid1(VALU_DEP_3)
	v_and_b32_e32 v19, 0xfffffe00, v12
	v_ashrrev_i32_e32 v12, 9, v12
	v_and_b32_e32 v13, 0xffffffe0, v10
	s_delay_alu instid0(VALU_DEP_1) | instskip(SKIP_1) | instid1(VALU_DEP_2)
	v_dual_sub_nc_u32 v56, v11, v19 :: v_dual_sub_nc_u32 v23, v2, v13
	v_ashrrev_i32_e32 v10, 5, v10
	v_cmp_lt_i32_e32 vcc_lo, 15, v56
	s_delay_alu instid0(VALU_DEP_3) | instskip(SKIP_1) | instid1(VALU_DEP_2)
	v_lshlrev_b32_e32 v2, 4, v23
	v_add_co_ci_u32_e64 v12, null, 0, v12, vcc_lo
	v_lshl_add_u32 v2, v10, 9, v2
	s_delay_alu instid0(VALU_DEP_2) | instskip(NEXT) | instid1(VALU_DEP_2)
	v_sub_nc_u32_e32 v57, v12, v10
	v_sub_nc_u32_e32 v22, v11, v2
	s_delay_alu instid0(VALU_DEP_1)
	v_cmpx_lt_i32_e32 15, v22
	s_cbranch_execz .LBB6_654
; %bb.651:                              ;   in Loop: Header=BB6_497 Depth=2
	s_trap 2
	ds_load_b64 v[12:13], v2
	v_dual_add_nc_u32 v14, v2, v18 :: v_dual_mov_b32 v16, v8
	s_cmp_lt_i32 s75, 0
	v_mov_b32_e32 v17, v3
	s_mov_b32 s17, 0
	s_delay_alu instid0(VALU_DEP_2) | instskip(SKIP_1) | instid1(VALU_DEP_1)
	v_ashrrev_i32_e32 v15, 31, v14
	s_cselect_b32 s45, -1, 0
	v_add_nc_u64_e32 v[10:11], v[14:15], v[44:45]
	s_wait_dscnt 0x0
	v_add_nc_u64_e32 v[12:13], v[12:13], v[14:15]
	v_add_nc_u64_e32 v[14:15], v[14:15], v[46:47]
.LBB6_652:                              ;   Parent Loop BB6_47 Depth=1
                                        ;     Parent Loop BB6_497 Depth=2
                                        ; =>    This Inner Loop Header: Depth=3
	global_load_b128 v[52:55], v[10:11], off th:TH_LOAD_NT
	global_load_b128 v[58:61], v[12:13], off th:TH_LOAD_NT
	s_wait_xcnt 0x1
	v_add_nc_u64_e32 v[10:11], v[10:11], v[66:67]
	s_wait_xcnt 0x0
	v_add_nc_u64_e32 v[12:13], v[12:13], v[66:67]
	v_dual_sub_nc_u32 v57, v57, v48 :: v_dual_mov_b32 v63, v3
	v_mov_b32_e32 v75, s21
	s_wait_loadcnt 0x0
	v_add_nc_u64_e32 v[52:53], v[58:59], v[52:53]
	v_add_nc_u64_e32 v[54:55], v[60:61], v[54:55]
	s_delay_alu instid0(VALU_DEP_2) | instskip(SKIP_1) | instid1(VALU_DEP_3)
	v_cmp_gt_i64_e64 s13, 0, v[52:53]
	v_sub_nc_u64_e32 v[58:59], 0, v[52:53]
	v_cmp_gt_i64_e64 s14, 0, v[54:55]
	v_sub_nc_u64_e32 v[60:61], 0, v[54:55]
	s_and_b32 s13, s45, s13
	s_delay_alu instid0(SALU_CYCLE_1) | instskip(SKIP_1) | instid1(VALU_DEP_1)
	v_dual_cndmask_b32 v53, v53, v59, s13 :: v_dual_cndmask_b32 v52, v52, v58, s13
	s_and_b32 s14, s45, s14
	v_mov_b32_e32 v2, v52
	s_delay_alu instid0(VALU_DEP_1) | instskip(NEXT) | instid1(VALU_DEP_1)
	v_mul_u64_e32 v[58:59], v[2:3], v[16:17]
	v_mov_b32_e32 v2, v59
	s_delay_alu instid0(VALU_DEP_1) | instskip(NEXT) | instid1(VALU_DEP_1)
	v_mad_nc_u64_u32 v[58:59], v53, v8, v[2:3]
	v_dual_cndmask_b32 v55, v55, v61, s14 :: v_dual_mov_b32 v2, v58
	s_delay_alu instid0(VALU_DEP_2) | instskip(NEXT) | instid1(VALU_DEP_2)
	v_mov_b32_e32 v62, v59
	v_mad_nc_u64_u32 v[58:59], v52, v9, v[2:3]
	s_delay_alu instid0(VALU_DEP_2) | instskip(NEXT) | instid1(VALU_DEP_2)
	v_mad_nc_u64_u32 v[62:63], v53, v9, v[62:63]
	v_dual_cndmask_b32 v54, v54, v60, s14 :: v_dual_mov_b32 v2, v59
	s_delay_alu instid0(VALU_DEP_1) | instskip(NEXT) | instid1(VALU_DEP_2)
	v_add_nc_u64_e32 v[58:59], v[62:63], v[2:3]
	v_dual_mov_b32 v2, v54 :: v_dual_mov_b32 v63, v3
	s_delay_alu instid0(VALU_DEP_1) | instskip(NEXT) | instid1(VALU_DEP_1)
	v_mul_u64_e32 v[60:61], v[2:3], v[16:17]
	v_mov_b32_e32 v2, v61
	s_delay_alu instid0(VALU_DEP_1) | instskip(NEXT) | instid1(VALU_DEP_1)
	v_mad_nc_u64_u32 v[60:61], v55, v8, v[2:3]
	v_dual_mov_b32 v2, v60 :: v_dual_mov_b32 v62, v61
	s_delay_alu instid0(VALU_DEP_1) | instskip(NEXT) | instid1(VALU_DEP_2)
	v_mad_nc_u64_u32 v[60:61], v54, v9, v[2:3]
	v_mad_nc_u64_u32 v[62:63], v55, v9, v[62:63]
	s_delay_alu instid0(VALU_DEP_2) | instskip(NEXT) | instid1(VALU_DEP_1)
	v_mov_b32_e32 v2, v61
	v_add_nc_u64_e32 v[60:61], v[62:63], v[2:3]
	v_mul_u64_e32 v[62:63], s[20:21], v[58:59]
	s_delay_alu instid0(VALU_DEP_2) | instskip(NEXT) | instid1(VALU_DEP_2)
	v_mul_u64_e32 v[72:73], s[20:21], v[60:61]
	v_sub_nc_u64_e32 v[52:53], v[52:53], v[62:63]
	v_mov_b32_e32 v63, s21
	s_delay_alu instid0(VALU_DEP_3) | instskip(NEXT) | instid1(VALU_DEP_3)
	v_sub_nc_u64_e32 v[54:55], v[54:55], v[72:73]
	v_cmp_le_u64_e64 s15, s[20:21], v[52:53]
	s_delay_alu instid0(VALU_DEP_1) | instskip(NEXT) | instid1(VALU_DEP_3)
	v_cndmask_b32_e64 v74, 0, 1, s15
	v_cmp_le_u64_e64 s15, s[20:21], v[54:55]
	s_delay_alu instid0(VALU_DEP_2) | instskip(NEXT) | instid1(VALU_DEP_2)
	v_add_nc_u64_e32 v[52:53], v[58:59], v[74:75]
	v_cndmask_b32_e64 v62, 0, 1, s15
	s_delay_alu instid0(VALU_DEP_2) | instskip(NEXT) | instid1(VALU_DEP_2)
	v_sub_nc_u64_e32 v[58:59], 0, v[52:53]
	v_add_nc_u64_e32 v[54:55], v[60:61], v[62:63]
	s_delay_alu instid0(VALU_DEP_2) | instskip(NEXT) | instid1(VALU_DEP_2)
	v_dual_sub_nc_u32 v22, v22, v66 :: v_dual_cndmask_b32 v53, v53, v59, s13
	v_sub_nc_u64_e32 v[60:61], 0, v[54:55]
	s_delay_alu instid0(VALU_DEP_4) | instskip(NEXT) | instid1(VALU_DEP_3)
	v_cndmask_b32_e64 v52, v52, v58, s13
	v_cmp_gt_i32_e64 s13, 16, v22
	s_delay_alu instid0(VALU_DEP_3)
	v_dual_cndmask_b32 v55, v55, v61, s14 :: v_dual_cndmask_b32 v54, v54, v60, s14
	s_or_b32 s17, s13, s17
	global_store_b128 v[14:15], v[52:55], off th:TH_STORE_NT
	s_wait_xcnt 0x0
	v_add_nc_u64_e32 v[14:15], v[14:15], v[66:67]
	s_and_not1_b32 exec_lo, exec_lo, s17
	s_cbranch_execnz .LBB6_652
; %bb.653:                              ;   in Loop: Header=BB6_497 Depth=2
	s_or_b32 exec_lo, exec_lo, s17
.LBB6_654:                              ;   in Loop: Header=BB6_497 Depth=2
	s_delay_alu instid0(SALU_CYCLE_1) | instskip(SKIP_3) | instid1(VALU_DEP_1)
	s_or_b32 exec_lo, exec_lo, s16
	v_and_b32_e32 v8, 8, v41
	s_mov_b32 s15, s76
	s_mov_b32 s14, exec_lo
                                        ; implicit-def: $vgpr76
                                        ; implicit-def: $vgpr2
                                        ; implicit-def: $vgpr22
	v_cndmask_b32_e32 v41, v56, v8, vcc_lo
	s_delay_alu instid0(VALU_DEP_1)
	v_cmpx_ne_u32_e32 0, v41
	s_cbranch_execz .LBB6_656
; %bb.655:                              ;   in Loop: Header=BB6_497 Depth=2
	v_cmp_lt_i32_e64 s13, 0, v57
	s_or_b32 s15, s76, exec_lo
	v_sub_nc_u32_e32 v8, v56, v8
	v_cndmask_b32_e64 v2, 0, v48, s13
	s_delay_alu instid0(VALU_DEP_1) | instskip(NEXT) | instid1(VALU_DEP_1)
	v_dual_cndmask_b32 v8, 0, v8, vcc_lo :: v_dual_sub_nc_u32 v2, v2, v57
	v_add3_u32 v76, v19, v18, v8
	s_delay_alu instid0(VALU_DEP_2) | instskip(NEXT) | instid1(VALU_DEP_1)
	v_lshl_add_u32 v2, v2, 5, v23
	v_ashrrev_i32_e32 v9, 31, v2
	s_delay_alu instid0(VALU_DEP_1) | instskip(NEXT) | instid1(VALU_DEP_1)
	v_lshrrev_b32_e32 v9, 27, v9
	v_add_nc_u32_e32 v9, v2, v9
	s_delay_alu instid0(VALU_DEP_1) | instskip(NEXT) | instid1(VALU_DEP_1)
	v_and_b32_e32 v9, 0xffffffe0, v9
	v_sub_nc_u32_e32 v22, v2, v9
.LBB6_656:                              ;   in Loop: Header=BB6_497 Depth=2
	s_or_b32 exec_lo, exec_lo, s14
	s_delay_alu instid0(SALU_CYCLE_1) | instskip(SKIP_1) | instid1(SALU_CYCLE_1)
	s_and_not1_b32 s13, s76, exec_lo
	s_and_b32 s14, s15, exec_lo
	s_or_b32 s76, s13, s14
.LBB6_657:                              ;   in Loop: Header=BB6_497 Depth=2
	s_or_b32 exec_lo, exec_lo, s44
	s_mov_b64 s[44:45], s[20:21]
	s_and_saveexec_b32 s77, s76
	s_cbranch_execz .LBB6_676
.LBB6_658:                              ;   in Loop: Header=BB6_497 Depth=2
	v_mov_b64_e32 v[8:9], -1
	s_cmp_lt_i32 s20, 1
	s_cbranch_scc1 .LBB6_663
; %bb.659:                              ;   in Loop: Header=BB6_497 Depth=2
	s_cmp_lg_u32 s20, 1
	s_cbranch_scc1 .LBB6_661
; %bb.660:                              ;   in Loop: Header=BB6_497 Depth=2
	s_mov_b64 s[16:17], 0x8000000000000000
	s_mov_b64 s[14:15], 1
	s_branch .LBB6_662
.LBB6_661:                              ;   in Loop: Header=BB6_497 Depth=2
	s_mov_b64 s[14:15], 3
	s_mov_b64 s[16:17], 0
.LBB6_662:                              ;   in Loop: Header=BB6_497 Depth=2
	v_cmp_lt_u64_e64 s13, s[14:15], s[44:45]
	s_or_b64 s[78:79], s[16:17], 2.0
	s_mov_b32 s15, s21
	s_and_b32 s13, s13, exec_lo
	s_cselect_b32 s13, 0, s44
	s_cselect_b32 s17, s17, s79
	;; [unrolled: 1-line block ×3, first 2 shown]
	s_sub_co_i32 s13, s14, s13
	s_or_b64 s[78:79], s[16:17], 0x2000000000000000
	s_lshl_b32 s13, s13, 1
	s_delay_alu instid0(SALU_CYCLE_1) | instskip(NEXT) | instid1(SALU_CYCLE_1)
	s_or_b32 s14, s13, 1
	v_cmp_lt_u64_e64 s13, s[14:15], s[44:45]
	s_and_b32 s13, s13, exec_lo
	s_cselect_b32 s17, s17, s79
	s_cselect_b32 s16, s16, s78
	s_sub_nc_u64 s[78:79], s[14:15], s[44:45]
	s_delay_alu instid0(SALU_CYCLE_1) | instskip(SKIP_1) | instid1(VALU_DEP_1)
	v_min_u64 v[8:9], s[14:15], s[78:79]
	s_or_b64 s[14:15], s[16:17], 0x1000000000000000
	v_lshlrev_b64_e32 v[8:9], 1, v[8:9]
	s_delay_alu instid0(VALU_DEP_1) | instskip(NEXT) | instid1(VALU_DEP_1)
	v_or_b32_e32 v8, 1, v8
	v_sub_nc_u64_e64 v[10:11], v[8:9], s[44:45]
	v_cmp_gt_u64_e32 vcc_lo, s[44:45], v[8:9]
	s_delay_alu instid0(VALU_DEP_2) | instskip(SKIP_3) | instid1(SALU_CYCLE_1)
	v_min_u64 v[8:9], v[8:9], v[10:11]
	s_and_b32 s13, vcc_lo, exec_lo
	s_cselect_b32 s15, s17, s15
	s_cselect_b32 s14, s16, s14
	s_or_b64 s[16:17], s[14:15], 0x800000000000000
	s_delay_alu instid0(VALU_DEP_1) | instskip(NEXT) | instid1(VALU_DEP_1)
	v_lshlrev_b64_e32 v[8:9], 1, v[8:9]
	v_or_b32_e32 v8, 1, v8
	s_delay_alu instid0(VALU_DEP_1) | instskip(SKIP_1) | instid1(VALU_DEP_2)
	v_sub_nc_u64_e64 v[10:11], v[8:9], s[44:45]
	v_cmp_gt_u64_e32 vcc_lo, s[44:45], v[8:9]
	v_min_u64 v[8:9], v[8:9], v[10:11]
	s_and_b32 s13, vcc_lo, exec_lo
	s_cselect_b32 s15, s15, s17
	s_cselect_b32 s14, s14, s16
	s_delay_alu instid0(SALU_CYCLE_1) | instskip(NEXT) | instid1(VALU_DEP_1)
	s_or_b64 s[16:17], s[14:15], 0x400000000000000
	v_lshlrev_b64_e32 v[8:9], 1, v[8:9]
	s_delay_alu instid0(VALU_DEP_1) | instskip(NEXT) | instid1(VALU_DEP_1)
	v_or_b32_e32 v8, 1, v8
	v_sub_nc_u64_e64 v[10:11], v[8:9], s[44:45]
	v_cmp_gt_u64_e32 vcc_lo, s[44:45], v[8:9]
	s_delay_alu instid0(VALU_DEP_2) | instskip(SKIP_3) | instid1(SALU_CYCLE_1)
	v_min_u64 v[8:9], v[8:9], v[10:11]
	s_and_b32 s13, vcc_lo, exec_lo
	s_cselect_b32 s15, s15, s17
	s_cselect_b32 s14, s14, s16
	s_or_b64 s[16:17], s[14:15], 0x200000000000000
	s_delay_alu instid0(VALU_DEP_1) | instskip(NEXT) | instid1(VALU_DEP_1)
	v_lshlrev_b64_e32 v[8:9], 1, v[8:9]
	v_or_b32_e32 v8, 1, v8
	s_delay_alu instid0(VALU_DEP_1) | instskip(SKIP_1) | instid1(VALU_DEP_2)
	v_sub_nc_u64_e64 v[10:11], v[8:9], s[44:45]
	v_cmp_gt_u64_e32 vcc_lo, s[44:45], v[8:9]
	v_min_u64 v[8:9], v[8:9], v[10:11]
	s_and_b32 s13, vcc_lo, exec_lo
	s_cselect_b32 s15, s15, s17
	s_cselect_b32 s14, s14, s16
	s_delay_alu instid0(SALU_CYCLE_1) | instskip(NEXT) | instid1(VALU_DEP_1)
	;; [unrolled: 23-line block ×29, first 2 shown]
	s_or_b64 s[16:17], s[14:15], 4
	v_lshlrev_b64_e32 v[8:9], 1, v[8:9]
	s_delay_alu instid0(VALU_DEP_1) | instskip(NEXT) | instid1(VALU_DEP_1)
	v_or_b32_e32 v8, 1, v8
	v_sub_nc_u64_e64 v[10:11], v[8:9], s[44:45]
	v_cmp_gt_u64_e32 vcc_lo, s[44:45], v[8:9]
	s_delay_alu instid0(VALU_DEP_2) | instskip(SKIP_3) | instid1(SALU_CYCLE_1)
	v_min_u64 v[8:9], v[8:9], v[10:11]
	s_and_b32 s13, vcc_lo, exec_lo
	s_cselect_b32 s15, s15, s17
	s_cselect_b32 s14, s14, s16
	s_or_b64 s[16:17], s[14:15], 2
	s_delay_alu instid0(VALU_DEP_1) | instskip(NEXT) | instid1(VALU_DEP_1)
	v_lshlrev_b64_e32 v[8:9], 1, v[8:9]
	v_or_b32_e32 v8, 1, v8
	s_delay_alu instid0(VALU_DEP_1) | instskip(SKIP_1) | instid1(VALU_DEP_2)
	v_sub_nc_u64_e64 v[10:11], v[8:9], s[44:45]
	v_cmp_gt_u64_e32 vcc_lo, s[44:45], v[8:9]
	v_min_u64 v[8:9], v[8:9], v[10:11]
	s_and_b32 s13, vcc_lo, exec_lo
	s_cselect_b32 s13, s15, s17
	s_cselect_b32 s14, s14, s16
	s_delay_alu instid0(VALU_DEP_1) | instskip(NEXT) | instid1(VALU_DEP_1)
	v_lshlrev_b64_e32 v[8:9], 1, v[8:9]
	v_or_b32_e32 v8, 1, v8
	s_delay_alu instid0(VALU_DEP_1) | instskip(SKIP_2) | instid1(VALU_DEP_1)
	v_cmp_le_u64_e32 vcc_lo, s[44:45], v[8:9]
	v_mov_b32_e32 v9, s13
	v_cndmask_b32_e64 v8, 0, 1, vcc_lo
	v_or_b32_e32 v8, s14, v8
.LBB6_663:                              ;   in Loop: Header=BB6_497 Depth=2
	v_dual_ashrrev_i32 v10, 31, v2 :: v_dual_ashrrev_i32 v11, 31, v41
	s_mov_b32 s76, exec_lo
	s_delay_alu instid0(VALU_DEP_1) | instskip(NEXT) | instid1(VALU_DEP_1)
	v_dual_lshrrev_b32 v10, 27, v10 :: v_dual_lshrrev_b32 v11, 22, v11
	v_dual_add_nc_u32 v2, v2, v10 :: v_dual_add_nc_u32 v10, v41, v11
	s_delay_alu instid0(VALU_DEP_1) | instskip(NEXT) | instid1(VALU_DEP_2)
	v_ashrrev_i32_e32 v2, 5, v2
	v_ashrrev_i32_e32 v77, 10, v10
	s_delay_alu instid0(VALU_DEP_1) | instskip(NEXT) | instid1(VALU_DEP_1)
	v_sub_nc_u32_e32 v23, v77, v2
	v_cmpx_lt_i32_e32 0, v23
	s_cbranch_execz .LBB6_667
; %bb.664:                              ;   in Loop: Header=BB6_497 Depth=2
	s_trap 2
	ds_load_b64 v[12:13], v2
	v_dual_lshlrev_b32 v2, 10, v2 :: v_dual_mov_b32 v16, v8
	v_dual_mov_b32 v17, v3 :: v_dual_lshlrev_b32 v10, 3, v22
	s_cmp_lt_i32 s75, 0
	s_mov_b32 s78, 0
	s_cselect_b32 s79, -1, 0
	s_delay_alu instid0(VALU_DEP_1) | instskip(NEXT) | instid1(VALU_DEP_1)
	v_add3_u32 v14, v76, v10, v2
	v_ashrrev_i32_e32 v15, 31, v14
	s_delay_alu instid0(VALU_DEP_1)
	v_add_nc_u64_e32 v[10:11], v[14:15], v[44:45]
	s_wait_dscnt 0x0
	v_add_nc_u64_e32 v[12:13], v[12:13], v[14:15]
	v_add_nc_u64_e32 v[14:15], v[14:15], v[46:47]
.LBB6_665:                              ;   Parent Loop BB6_47 Depth=1
                                        ;     Parent Loop BB6_497 Depth=2
                                        ; =>    This Inner Loop Header: Depth=3
	flat_load_b64 v[18:19], v[12:13] th:TH_LOAD_NT
	s_clause 0x1
	flat_load_b64 v[52:53], v[10:11] th:TH_LOAD_NT
	flat_load_b64 v[54:55], v[10:11] offset:256 th:TH_LOAD_NT
	s_clause 0x1
	flat_load_b64 v[62:63], v[12:13] offset:256 th:TH_LOAD_NT
	flat_load_b64 v[78:79], v[12:13] offset:512 th:TH_LOAD_NT
	s_clause 0x1
	flat_load_b64 v[88:89], v[10:11] offset:512 th:TH_LOAD_NT
	flat_load_b64 v[56:57], v[10:11] offset:768 th:TH_LOAD_NT
	;; [unrolled: 1-line block ×3, first 2 shown]
	v_dual_mov_b32 v91, v3 :: v_dual_mov_b32 v93, s21
	s_wait_xcnt 0x1
	v_add_nc_u64_e32 v[10:11], v[10:11], v[68:69]
	s_wait_xcnt 0x0
	v_add_nc_u64_e32 v[12:13], v[12:13], v[68:69]
	v_dual_mov_b32 v73, v3 :: v_dual_mov_b32 v75, s21
	v_dual_sub_nc_u32 v23, v23, v48 :: v_dual_mov_b32 v95, s21
	s_delay_alu instid0(VALU_DEP_1)
	v_cmp_gt_i32_e64 s15, 1, v23
	s_wait_loadcnt_dscnt 0x606
	v_add_nc_u64_e32 v[18:19], v[18:19], v[52:53]
	s_wait_loadcnt_dscnt 0x404
	v_add_nc_u64_e32 v[54:55], v[62:63], v[54:55]
	;; [unrolled: 2-line block ×4, first 2 shown]
	v_cmp_gt_i64_e32 vcc_lo, 0, v[18:19]
	v_sub_nc_u64_e32 v[52:53], 0, v[18:19]
	v_cmp_gt_i64_e64 s13, 0, v[54:55]
	v_sub_nc_u64_e32 v[62:63], 0, v[54:55]
	v_cmp_gt_i64_e64 s14, 0, v[78:79]
	;; [unrolled: 2-line block ×3, first 2 shown]
	s_and_b32 vcc_lo, s79, vcc_lo
	v_sub_nc_u64_e32 v[58:59], 0, v[56:57]
	v_dual_cndmask_b32 v19, v19, v53 :: v_dual_cndmask_b32 v18, v18, v52
	s_and_b32 s13, s79, s13
	s_delay_alu instid0(SALU_CYCLE_1)
	v_dual_mov_b32 v61, s21 :: v_dual_cndmask_b32 v63, v55, v63, s13
	s_and_b32 s14, s79, s14
	s_delay_alu instid0(VALU_DEP_2) | instid1(SALU_CYCLE_1)
	v_dual_mov_b32 v2, v18 :: v_dual_cndmask_b32 v79, v79, v89, s14
	v_dual_cndmask_b32 v78, v78, v88, s14 :: v_dual_mov_b32 v89, v3
	s_and_b32 s16, s79, s16
	s_delay_alu instid0(VALU_DEP_2) | instskip(SKIP_2) | instid1(VALU_DEP_2)
	v_mul_u64_e32 v[52:53], v[2:3], v[16:17]
	v_cndmask_b32_e64 v62, v54, v62, s13
	s_or_b32 s78, s15, s78
	v_mov_b32_e32 v2, v53
	s_delay_alu instid0(VALU_DEP_1) | instskip(NEXT) | instid1(VALU_DEP_1)
	v_mad_nc_u64_u32 v[52:53], v19, v8, v[2:3]
	v_dual_mov_b32 v2, v52 :: v_dual_mov_b32 v72, v53
	s_delay_alu instid0(VALU_DEP_1) | instskip(NEXT) | instid1(VALU_DEP_2)
	v_mad_nc_u64_u32 v[52:53], v18, v9, v[2:3]
	v_mad_nc_u64_u32 v[54:55], v19, v9, v[72:73]
	s_delay_alu instid0(VALU_DEP_2) | instskip(NEXT) | instid1(VALU_DEP_1)
	v_mov_b32_e32 v2, v53
	v_add_nc_u64_e32 v[72:73], v[54:55], v[2:3]
	v_dual_mov_b32 v2, v62 :: v_dual_mov_b32 v55, v3
	s_delay_alu instid0(VALU_DEP_1) | instskip(NEXT) | instid1(VALU_DEP_1)
	v_mul_u64_e32 v[52:53], v[2:3], v[16:17]
	v_mov_b32_e32 v2, v53
	s_delay_alu instid0(VALU_DEP_1) | instskip(NEXT) | instid1(VALU_DEP_1)
	v_mad_nc_u64_u32 v[52:53], v63, v8, v[2:3]
	v_dual_mov_b32 v2, v52 :: v_dual_mov_b32 v54, v53
	s_delay_alu instid0(VALU_DEP_1) | instskip(NEXT) | instid1(VALU_DEP_2)
	v_mad_nc_u64_u32 v[52:53], v62, v9, v[2:3]
	v_mad_nc_u64_u32 v[54:55], v63, v9, v[54:55]
	s_delay_alu instid0(VALU_DEP_2) | instskip(NEXT) | instid1(VALU_DEP_1)
	v_mov_b32_e32 v2, v53
	v_add_nc_u64_e32 v[52:53], v[54:55], v[2:3]
	v_mov_b32_e32 v2, v78
	s_delay_alu instid0(VALU_DEP_1) | instskip(NEXT) | instid1(VALU_DEP_1)
	v_mul_u64_e32 v[54:55], v[2:3], v[16:17]
	v_dual_cndmask_b32 v57, v57, v59, s16 :: v_dual_mov_b32 v2, v55
	s_delay_alu instid0(VALU_DEP_1) | instskip(NEXT) | instid1(VALU_DEP_1)
	v_mad_nc_u64_u32 v[54:55], v79, v8, v[2:3]
	v_dual_cndmask_b32 v56, v56, v58, s16 :: v_dual_mov_b32 v2, v54
	s_delay_alu instid0(VALU_DEP_2) | instskip(NEXT) | instid1(VALU_DEP_2)
	v_mov_b32_e32 v90, v55
	v_mad_nc_u64_u32 v[54:55], v78, v9, v[2:3]
	s_delay_alu instid0(VALU_DEP_1) | instskip(NEXT) | instid1(VALU_DEP_3)
	v_mov_b32_e32 v2, v55
	v_mad_nc_u64_u32 v[58:59], v79, v9, v[90:91]
	v_mul_u64_e32 v[90:91], s[44:45], v[72:73]
	s_delay_alu instid0(VALU_DEP_2) | instskip(SKIP_1) | instid1(VALU_DEP_1)
	v_add_nc_u64_e32 v[54:55], v[58:59], v[2:3]
	v_mov_b32_e32 v2, v56
	v_mul_u64_e32 v[58:59], v[2:3], v[16:17]
	s_delay_alu instid0(VALU_DEP_4) | instskip(NEXT) | instid1(VALU_DEP_1)
	v_sub_nc_u64_e32 v[18:19], v[18:19], v[90:91]
	v_cmp_le_u64_e64 s17, s[44:45], v[18:19]
	s_delay_alu instid0(VALU_DEP_1) | instskip(NEXT) | instid1(VALU_DEP_1)
	v_cndmask_b32_e64 v60, 0, 1, s17
	v_add_nc_u64_e32 v[60:61], v[72:73], v[60:61]
	s_delay_alu instid0(VALU_DEP_1) | instskip(NEXT) | instid1(VALU_DEP_1)
	v_sub_nc_u64_e32 v[72:73], 0, v[60:61]
	v_dual_mov_b32 v2, v59 :: v_dual_cndmask_b32 v61, v61, v73
	s_delay_alu instid0(VALU_DEP_1) | instskip(NEXT) | instid1(VALU_DEP_1)
	v_mad_nc_u64_u32 v[58:59], v57, v8, v[2:3]
	v_dual_cndmask_b32 v60, v60, v72, vcc_lo :: v_dual_mov_b32 v2, v58
	s_delay_alu instid0(VALU_DEP_2) | instskip(NEXT) | instid1(VALU_DEP_2)
	v_mov_b32_e32 v88, v59
	v_mad_nc_u64_u32 v[18:19], v56, v9, v[2:3]
	s_delay_alu instid0(VALU_DEP_2) | instskip(SKIP_1) | instid1(VALU_DEP_3)
	v_mad_nc_u64_u32 v[58:59], v57, v9, v[88:89]
	v_mul_u64_e32 v[88:89], s[44:45], v[54:55]
	v_mov_b32_e32 v2, v19
	s_delay_alu instid0(VALU_DEP_1) | instskip(SKIP_1) | instid1(VALU_DEP_2)
	v_add_nc_u64_e32 v[18:19], v[58:59], v[2:3]
	v_mul_u64_e32 v[58:59], s[44:45], v[52:53]
	v_mul_u64_e32 v[90:91], s[44:45], v[18:19]
	s_delay_alu instid0(VALU_DEP_2) | instskip(NEXT) | instid1(VALU_DEP_2)
	v_sub_nc_u64_e32 v[58:59], v[62:63], v[58:59]
	v_sub_nc_u64_e32 v[56:57], v[56:57], v[90:91]
	s_delay_alu instid0(VALU_DEP_2) | instskip(SKIP_2) | instid1(VALU_DEP_2)
	v_cmp_le_u64_e32 vcc_lo, s[44:45], v[58:59]
	v_sub_nc_u64_e32 v[58:59], v[78:79], v[88:89]
	v_cndmask_b32_e64 v74, 0, 1, vcc_lo
	v_cmp_le_u64_e32 vcc_lo, s[44:45], v[58:59]
	s_delay_alu instid0(VALU_DEP_2) | instskip(SKIP_2) | instid1(VALU_DEP_3)
	v_add_nc_u64_e32 v[52:53], v[52:53], v[74:75]
	v_cndmask_b32_e64 v92, 0, 1, vcc_lo
	v_cmp_le_u64_e32 vcc_lo, s[44:45], v[56:57]
	v_sub_nc_u64_e32 v[56:57], 0, v[52:53]
	s_delay_alu instid0(VALU_DEP_3) | instskip(SKIP_1) | instid1(VALU_DEP_3)
	v_add_nc_u64_e32 v[54:55], v[54:55], v[92:93]
	v_cndmask_b32_e64 v94, 0, 1, vcc_lo
	v_cndmask_b32_e64 v53, v53, v57, s13
	s_delay_alu instid0(VALU_DEP_3) | instskip(NEXT) | instid1(VALU_DEP_3)
	v_sub_nc_u64_e32 v[58:59], 0, v[54:55]
	v_add_nc_u64_e32 v[18:19], v[18:19], v[94:95]
	s_delay_alu instid0(VALU_DEP_2) | instskip(NEXT) | instid1(VALU_DEP_2)
	v_dual_cndmask_b32 v52, v52, v56, s13 :: v_dual_cndmask_b32 v55, v55, v59, s14
	v_sub_nc_u64_e32 v[62:63], 0, v[18:19]
	s_delay_alu instid0(VALU_DEP_1) | instskip(NEXT) | instid1(VALU_DEP_2)
	v_dual_cndmask_b32 v54, v54, v58, s14 :: v_dual_cndmask_b32 v19, v19, v63, s16
	v_cndmask_b32_e64 v18, v18, v62, s16
	s_clause 0x3
	flat_store_b64 v[14:15], v[60:61] th:TH_STORE_NT
	flat_store_b64 v[14:15], v[52:53] offset:256 th:TH_STORE_NT
	flat_store_b64 v[14:15], v[54:55] offset:512 th:TH_STORE_NT
	;; [unrolled: 1-line block ×3, first 2 shown]
	s_wait_xcnt 0x0
	v_add_nc_u64_e32 v[14:15], v[14:15], v[68:69]
	s_and_not1_b32 exec_lo, exec_lo, s78
	s_cbranch_execnz .LBB6_665
; %bb.666:                              ;   in Loop: Header=BB6_497 Depth=2
	s_or_b32 exec_lo, exec_lo, s78
.LBB6_667:                              ;   in Loop: Header=BB6_497 Depth=2
	s_delay_alu instid0(SALU_CYCLE_1) | instskip(SKIP_1) | instid1(VALU_DEP_1)
	s_or_b32 exec_lo, exec_lo, s76
	v_lshlrev_b32_e32 v2, 10, v77
	v_cmp_ne_u32_e32 vcc_lo, v41, v2
	s_and_b32 exec_lo, exec_lo, vcc_lo
	s_cbranch_execz .LBB6_676
; %bb.668:                              ;   in Loop: Header=BB6_497 Depth=2
	v_mov_b64_e32 v[8:9], -1
	s_cmp_lt_i32 s20, 1
	s_cbranch_scc1 .LBB6_673
; %bb.669:                              ;   in Loop: Header=BB6_497 Depth=2
	s_cmp_lg_u32 s20, 1
	s_cbranch_scc1 .LBB6_671
; %bb.670:                              ;   in Loop: Header=BB6_497 Depth=2
	s_mov_b64 s[16:17], 0x8000000000000000
	s_mov_b64 s[14:15], 1
	s_branch .LBB6_672
.LBB6_671:                              ;   in Loop: Header=BB6_497 Depth=2
	s_mov_b64 s[14:15], 3
	s_mov_b64 s[16:17], 0
.LBB6_672:                              ;   in Loop: Header=BB6_497 Depth=2
	v_cmp_lt_u64_e64 s13, s[14:15], s[44:45]
	s_or_b64 s[78:79], s[16:17], 2.0
	s_and_b32 s13, s13, exec_lo
	s_cselect_b32 s13, 0, s44
	s_cselect_b32 s17, s17, s79
	;; [unrolled: 1-line block ×3, first 2 shown]
	s_sub_co_i32 s13, s14, s13
	s_or_b64 s[14:15], s[16:17], 0x2000000000000000
	s_lshl_b32 s13, s13, 1
	s_delay_alu instid0(SALU_CYCLE_1) | instskip(NEXT) | instid1(SALU_CYCLE_1)
	s_or_b32 s20, s13, 1
	v_cmp_lt_u64_e64 s13, s[20:21], s[44:45]
	s_and_b32 s13, s13, exec_lo
	s_cselect_b32 s15, s17, s15
	s_cselect_b32 s14, s16, s14
	s_sub_nc_u64 s[16:17], s[20:21], s[44:45]
	s_delay_alu instid0(SALU_CYCLE_1) | instskip(SKIP_1) | instid1(VALU_DEP_1)
	v_min_u64 v[8:9], s[20:21], s[16:17]
	s_or_b64 s[16:17], s[14:15], 0x1000000000000000
	v_lshlrev_b64_e32 v[8:9], 1, v[8:9]
	s_delay_alu instid0(VALU_DEP_1) | instskip(NEXT) | instid1(VALU_DEP_1)
	v_or_b32_e32 v8, 1, v8
	v_sub_nc_u64_e64 v[10:11], v[8:9], s[44:45]
	v_cmp_gt_u64_e32 vcc_lo, s[44:45], v[8:9]
	s_delay_alu instid0(VALU_DEP_2) | instskip(SKIP_3) | instid1(SALU_CYCLE_1)
	v_min_u64 v[8:9], v[8:9], v[10:11]
	s_and_b32 s13, vcc_lo, exec_lo
	s_cselect_b32 s15, s15, s17
	s_cselect_b32 s14, s14, s16
	s_or_b64 s[16:17], s[14:15], 0x800000000000000
	s_delay_alu instid0(VALU_DEP_1) | instskip(NEXT) | instid1(VALU_DEP_1)
	v_lshlrev_b64_e32 v[8:9], 1, v[8:9]
	v_or_b32_e32 v8, 1, v8
	s_delay_alu instid0(VALU_DEP_1) | instskip(SKIP_1) | instid1(VALU_DEP_2)
	v_sub_nc_u64_e64 v[10:11], v[8:9], s[44:45]
	v_cmp_gt_u64_e32 vcc_lo, s[44:45], v[8:9]
	v_min_u64 v[8:9], v[8:9], v[10:11]
	s_and_b32 s13, vcc_lo, exec_lo
	s_cselect_b32 s15, s15, s17
	s_cselect_b32 s14, s14, s16
	s_delay_alu instid0(SALU_CYCLE_1) | instskip(NEXT) | instid1(VALU_DEP_1)
	s_or_b64 s[16:17], s[14:15], 0x400000000000000
	v_lshlrev_b64_e32 v[8:9], 1, v[8:9]
	s_delay_alu instid0(VALU_DEP_1) | instskip(NEXT) | instid1(VALU_DEP_1)
	v_or_b32_e32 v8, 1, v8
	v_sub_nc_u64_e64 v[10:11], v[8:9], s[44:45]
	v_cmp_gt_u64_e32 vcc_lo, s[44:45], v[8:9]
	s_delay_alu instid0(VALU_DEP_2) | instskip(SKIP_3) | instid1(SALU_CYCLE_1)
	v_min_u64 v[8:9], v[8:9], v[10:11]
	s_and_b32 s13, vcc_lo, exec_lo
	s_cselect_b32 s15, s15, s17
	s_cselect_b32 s14, s14, s16
	s_or_b64 s[16:17], s[14:15], 0x200000000000000
	s_delay_alu instid0(VALU_DEP_1) | instskip(NEXT) | instid1(VALU_DEP_1)
	v_lshlrev_b64_e32 v[8:9], 1, v[8:9]
	v_or_b32_e32 v8, 1, v8
	s_delay_alu instid0(VALU_DEP_1) | instskip(SKIP_1) | instid1(VALU_DEP_2)
	v_sub_nc_u64_e64 v[10:11], v[8:9], s[44:45]
	v_cmp_gt_u64_e32 vcc_lo, s[44:45], v[8:9]
	v_min_u64 v[8:9], v[8:9], v[10:11]
	s_and_b32 s13, vcc_lo, exec_lo
	s_cselect_b32 s15, s15, s17
	s_cselect_b32 s14, s14, s16
	s_delay_alu instid0(SALU_CYCLE_1) | instskip(NEXT) | instid1(VALU_DEP_1)
	;; [unrolled: 23-line block ×29, first 2 shown]
	s_or_b64 s[16:17], s[14:15], 4
	v_lshlrev_b64_e32 v[8:9], 1, v[8:9]
	s_delay_alu instid0(VALU_DEP_1) | instskip(NEXT) | instid1(VALU_DEP_1)
	v_or_b32_e32 v8, 1, v8
	v_sub_nc_u64_e64 v[10:11], v[8:9], s[44:45]
	v_cmp_gt_u64_e32 vcc_lo, s[44:45], v[8:9]
	s_delay_alu instid0(VALU_DEP_2) | instskip(SKIP_3) | instid1(SALU_CYCLE_1)
	v_min_u64 v[8:9], v[8:9], v[10:11]
	s_and_b32 s13, vcc_lo, exec_lo
	s_cselect_b32 s15, s15, s17
	s_cselect_b32 s14, s14, s16
	s_or_b64 s[16:17], s[14:15], 2
	s_delay_alu instid0(VALU_DEP_1) | instskip(NEXT) | instid1(VALU_DEP_1)
	v_lshlrev_b64_e32 v[8:9], 1, v[8:9]
	v_or_b32_e32 v8, 1, v8
	s_delay_alu instid0(VALU_DEP_1) | instskip(SKIP_1) | instid1(VALU_DEP_2)
	v_sub_nc_u64_e64 v[10:11], v[8:9], s[44:45]
	v_cmp_gt_u64_e32 vcc_lo, s[44:45], v[8:9]
	v_min_u64 v[8:9], v[8:9], v[10:11]
	s_and_b32 s13, vcc_lo, exec_lo
	s_cselect_b32 s13, s15, s17
	s_cselect_b32 s14, s14, s16
	s_delay_alu instid0(VALU_DEP_1) | instskip(NEXT) | instid1(VALU_DEP_1)
	v_lshlrev_b64_e32 v[8:9], 1, v[8:9]
	v_or_b32_e32 v8, 1, v8
	s_delay_alu instid0(VALU_DEP_1) | instskip(SKIP_2) | instid1(VALU_DEP_1)
	v_cmp_le_u64_e32 vcc_lo, s[44:45], v[8:9]
	v_mov_b32_e32 v9, s13
	v_cndmask_b32_e64 v8, 0, 1, vcc_lo
	v_or_b32_e32 v8, s14, v8
.LBB6_673:                              ;   in Loop: Header=BB6_497 Depth=2
	v_lshlrev_b32_e32 v10, 5, v23
	s_delay_alu instid0(VALU_DEP_1) | instskip(NEXT) | instid1(VALU_DEP_1)
	v_sub_nc_u32_e32 v10, v22, v10
	v_ashrrev_i32_e32 v11, 31, v10
	s_delay_alu instid0(VALU_DEP_1) | instskip(NEXT) | instid1(VALU_DEP_1)
	v_lshrrev_b32_e32 v11, 27, v11
	v_add_nc_u32_e32 v11, v10, v11
	s_delay_alu instid0(VALU_DEP_1) | instskip(NEXT) | instid1(VALU_DEP_1)
	v_and_b32_e32 v12, 0x1fffffe0, v11
	v_dual_lshlrev_b32 v11, 3, v11 :: v_dual_sub_nc_u32 v10, v10, v12
	s_delay_alu instid0(VALU_DEP_1) | instskip(NEXT) | instid1(VALU_DEP_1)
	v_and_b32_e32 v11, 0xffffff00, v11
	v_lshl_add_u32 v10, v10, 3, v11
	s_delay_alu instid0(VALU_DEP_1) | instskip(NEXT) | instid1(VALU_DEP_1)
	v_add_nc_u32_e32 v11, v2, v10
	v_sub_nc_u32_e32 v18, v41, v11
	s_delay_alu instid0(VALU_DEP_1)
	v_cmp_lt_i32_e32 vcc_lo, 7, v18
	s_and_b32 exec_lo, exec_lo, vcc_lo
	s_cbranch_execz .LBB6_676
; %bb.674:                              ;   in Loop: Header=BB6_497 Depth=2
	s_trap 2
	ds_load_b64 v[12:13], v2
	v_add3_u32 v14, v2, v76, v10
	v_mov_b32_e32 v17, v3
	s_cmp_lt_i32 s75, 0
	v_mov_b32_e32 v16, v8
	s_mov_b32 s14, 0
	v_ashrrev_i32_e32 v15, 31, v14
	s_cselect_b32 s15, -1, 0
	s_delay_alu instid0(VALU_DEP_1)
	v_add_nc_u64_e32 v[10:11], v[14:15], v[44:45]
	s_wait_dscnt 0x0
	v_add_nc_u64_e32 v[12:13], v[12:13], v[14:15]
	v_add_nc_u64_e32 v[14:15], v[14:15], v[46:47]
.LBB6_675:                              ;   Parent Loop BB6_47 Depth=1
                                        ;     Parent Loop BB6_497 Depth=2
                                        ; =>    This Inner Loop Header: Depth=3
	flat_load_b64 v[22:23], v[10:11] th:TH_LOAD_NT
	flat_load_b64 v[52:53], v[12:13] th:TH_LOAD_NT
	s_wait_xcnt 0x1
	v_add_nc_u64_e32 v[10:11], v[10:11], v[70:71]
	s_wait_xcnt 0x0
	v_add_nc_u64_e32 v[12:13], v[12:13], v[70:71]
	v_dual_mov_b32 v55, v3 :: v_dual_sub_nc_u32 v18, v18, v70
	s_wait_loadcnt_dscnt 0x0
	v_add_nc_u64_e32 v[22:23], v[52:53], v[22:23]
	s_delay_alu instid0(VALU_DEP_1) | instskip(SKIP_2) | instid1(VALU_DEP_1)
	v_cmp_gt_i64_e32 vcc_lo, 0, v[22:23]
	v_sub_nc_u64_e32 v[52:53], 0, v[22:23]
	s_and_b32 vcc_lo, s15, vcc_lo
	v_dual_cndmask_b32 v23, v23, v53 :: v_dual_cndmask_b32 v22, v22, v52
	s_delay_alu instid0(VALU_DEP_1) | instskip(NEXT) | instid1(VALU_DEP_1)
	v_mov_b32_e32 v2, v22
	v_mul_u64_e32 v[52:53], v[2:3], v[16:17]
	s_delay_alu instid0(VALU_DEP_1) | instskip(NEXT) | instid1(VALU_DEP_1)
	v_mov_b32_e32 v2, v53
	v_mad_nc_u64_u32 v[52:53], v23, v8, v[2:3]
	s_delay_alu instid0(VALU_DEP_1) | instskip(NEXT) | instid1(VALU_DEP_1)
	v_dual_mov_b32 v2, v52 :: v_dual_mov_b32 v54, v53
	v_mad_nc_u64_u32 v[52:53], v22, v9, v[2:3]
	s_delay_alu instid0(VALU_DEP_2) | instskip(NEXT) | instid1(VALU_DEP_2)
	v_mad_nc_u64_u32 v[54:55], v23, v9, v[54:55]
	v_mov_b32_e32 v2, v53
	s_delay_alu instid0(VALU_DEP_1) | instskip(NEXT) | instid1(VALU_DEP_1)
	v_add_nc_u64_e32 v[52:53], v[54:55], v[2:3]
	v_mul_u64_e32 v[54:55], s[44:45], v[52:53]
	s_delay_alu instid0(VALU_DEP_1) | instskip(SKIP_1) | instid1(VALU_DEP_2)
	v_sub_nc_u64_e32 v[22:23], v[22:23], v[54:55]
	v_mov_b32_e32 v55, s21
	v_cmp_le_u64_e64 s13, s[44:45], v[22:23]
	s_delay_alu instid0(VALU_DEP_1) | instskip(NEXT) | instid1(VALU_DEP_1)
	v_cndmask_b32_e64 v54, 0, 1, s13
	v_add_nc_u64_e32 v[22:23], v[52:53], v[54:55]
	s_delay_alu instid0(VALU_DEP_1) | instskip(NEXT) | instid1(VALU_DEP_1)
	v_sub_nc_u64_e32 v[52:53], 0, v[22:23]
	v_dual_cndmask_b32 v23, v23, v53 :: v_dual_cndmask_b32 v22, v22, v52
	v_cmp_gt_i32_e32 vcc_lo, 8, v18
	flat_store_b64 v[14:15], v[22:23] th:TH_STORE_NT
	s_wait_xcnt 0x0
	v_add_nc_u64_e32 v[14:15], v[14:15], v[70:71]
	s_or_b32 s14, vcc_lo, s14
	s_delay_alu instid0(SALU_CYCLE_1)
	s_and_not1_b32 exec_lo, exec_lo, s14
	s_cbranch_execnz .LBB6_675
.LBB6_676:                              ;   in Loop: Header=BB6_497 Depth=2
	s_or_b32 exec_lo, exec_lo, s77
	v_cmp_lt_i32_e64 s13, 0, v119
	s_and_saveexec_b32 s14, s2
	s_cbranch_execz .LBB6_576
.LBB6_677:                              ;   in Loop: Header=BB6_497 Depth=2
	s_and_saveexec_b32 s15, s3
	s_delay_alu instid0(SALU_CYCLE_1)
	s_xor_b32 s15, exec_lo, s15
	s_cbranch_execz .LBB6_692
; %bb.678:                              ;   in Loop: Header=BB6_497 Depth=2
	s_and_saveexec_b32 s16, s6
	s_cbranch_execz .LBB6_691
; %bb.679:                              ;   in Loop: Header=BB6_497 Depth=2
	s_mov_b32 s20, exec_lo
	s_mov_b32 s17, exec_lo
	v_mbcnt_lo_u32_b32 v2, s20, 0
	global_wb scope:SCOPE_DEV
	s_wait_storecnt 0x0
	s_wait_loadcnt_dscnt 0x0
	global_inv scope:SCOPE_DEV
	v_cmpx_eq_u32_e32 0, v2
	s_cbranch_execz .LBB6_681
; %bb.680:                              ;   in Loop: Header=BB6_497 Depth=2
	s_bcnt1_i32_b32 s20, s20
	s_delay_alu instid0(SALU_CYCLE_1)
	v_mov_b32_e32 v2, s20
	s_wait_loadcnt 0x0
	ds_add_u64 v2, v[2:3]
	s_trap 2
.LBB6_681:                              ;   in Loop: Header=BB6_497 Depth=2
	s_or_b32 exec_lo, exec_lo, s17
	s_trap 2
	ds_load_b64 v[8:9], v2
	s_wait_dscnt 0x0
	v_add_nc_u64_e32 v[36:37], v[36:37], v[48:49]
	s_mov_b32 s17, exec_lo
	s_delay_alu instid0(VALU_DEP_1)
	v_cmpx_lt_u64_e64 v[8:9], v[36:37]
	s_cbranch_execz .LBB6_690
; %bb.682:                              ;   in Loop: Header=BB6_497 Depth=2
	s_mov_b32 s20, 0
	s_mov_b32 s75, 0
                                        ; implicit-def: $sgpr44
                                        ; implicit-def: $sgpr45
	s_branch .LBB6_684
.LBB6_683:                              ;   in Loop: Header=BB6_684 Depth=3
	s_or_b32 exec_lo, exec_lo, s77
	s_delay_alu instid0(SALU_CYCLE_1) | instskip(NEXT) | instid1(SALU_CYCLE_1)
	s_and_b32 s76, exec_lo, s78
	s_or_b32 s20, s76, s20
	s_and_not1_b32 s44, s44, exec_lo
	s_and_b32 s76, s45, exec_lo
	s_delay_alu instid0(SALU_CYCLE_1)
	s_or_b32 s44, s44, s76
	s_and_not1_b32 exec_lo, exec_lo, s20
	s_cbranch_execz .LBB6_688
.LBB6_684:                              ;   Parent Loop BB6_47 Depth=1
                                        ;     Parent Loop BB6_497 Depth=2
                                        ; =>    This Inner Loop Header: Depth=3
	s_add_co_i32 s75, s75, 1
	s_delay_alu instid0(SALU_CYCLE_1) | instskip(SKIP_1) | instid1(SALU_CYCLE_1)
	s_cmp_lg_u32 s75, 0x2710
	s_cselect_b32 s76, -1, 0
	s_and_b32 vcc_lo, exec_lo, s76
	s_cbranch_vccz .LBB6_686
; %bb.685:                              ;   in Loop: Header=BB6_684 Depth=3
	s_mov_b32 s78, -1
	s_or_b32 s45, s45, exec_lo
	s_and_saveexec_b32 s77, s76
	s_cbranch_execz .LBB6_683
	s_branch .LBB6_687
.LBB6_686:                              ;   in Loop: Header=BB6_684 Depth=3
	s_trap 2
	ds_load_b64 v[8:9], v2
	s_and_not1_b32 s76, s76, exec_lo
	s_mov_b32 s75, 0
	s_wait_loadcnt_dscnt 0x0
	flat_load_b32 v2, v[8:9] scope:SCOPE_SYS
	s_wait_loadcnt_dscnt 0x0
	global_inv scope:SCOPE_SYS
	v_cmp_eq_u32_e32 vcc_lo, 0, v2
	s_and_b32 s77, vcc_lo, exec_lo
	s_delay_alu instid0(SALU_CYCLE_1)
	s_or_b32 s76, s76, s77
	s_mov_b32 s78, -1
	s_or_b32 s45, s45, exec_lo
	s_and_saveexec_b32 s77, s76
	s_cbranch_execz .LBB6_683
.LBB6_687:                              ;   in Loop: Header=BB6_684 Depth=3
	s_sleep 1
	s_trap 2
	ds_load_b64 v[8:9], v2
	s_wait_dscnt 0x0
	s_and_not1_b32 s45, s45, exec_lo
	v_cmp_ge_u64_e32 vcc_lo, v[8:9], v[36:37]
	s_or_not1_b32 s78, vcc_lo, exec_lo
	s_branch .LBB6_683
.LBB6_688:                              ;   in Loop: Header=BB6_497 Depth=2
	s_or_b32 exec_lo, exec_lo, s20
	s_and_saveexec_b32 s20, s44
	s_delay_alu instid0(SALU_CYCLE_1)
	s_xor_b32 s20, exec_lo, s20
	s_cbranch_execz .LBB6_690
; %bb.689:                              ;   in Loop: Header=BB6_497 Depth=2
	ds_store_b32 v2, v121
	s_trap 2
.LBB6_690:                              ;   in Loop: Header=BB6_497 Depth=2
	s_or_b32 exec_lo, exec_lo, s17
	;;#ASMSTART
	s_wakeup
	;;#ASMEND
.LBB6_691:                              ;   in Loop: Header=BB6_497 Depth=2
	s_or_b32 exec_lo, exec_lo, s16
.LBB6_692:                              ;   in Loop: Header=BB6_497 Depth=2
	s_and_not1_saveexec_b32 s15, s15
	s_cbranch_execz .LBB6_694
; %bb.693:                              ;   in Loop: Header=BB6_497 Depth=2
	global_wb scope:SCOPE_DEV
	s_wait_storecnt 0x0
	s_wait_loadcnt_dscnt 0x0
	global_inv scope:SCOPE_DEV
	s_barrier_signal -1
	s_barrier_wait -1
.LBB6_694:                              ;   in Loop: Header=BB6_497 Depth=2
	s_or_b32 exec_lo, exec_lo, s15
	s_delay_alu instid0(SALU_CYCLE_1) | instskip(SKIP_1) | instid1(SALU_CYCLE_1)
	s_or_b32 exec_lo, exec_lo, s14
                                        ; implicit-def: $vgpr2
	s_and_saveexec_b32 s14, s12
	s_xor_b32 s14, exec_lo, s14
	s_cbranch_execnz .LBB6_577
.LBB6_695:                              ;   in Loop: Header=BB6_497 Depth=2
	s_and_not1_saveexec_b32 s13, s14
	s_cbranch_execz .LBB6_714
.LBB6_696:                              ;   in Loop: Header=BB6_497 Depth=2
	s_and_saveexec_b32 s14, s3
	s_delay_alu instid0(SALU_CYCLE_1)
	s_xor_b32 s14, exec_lo, s14
	s_cbranch_execz .LBB6_711
; %bb.697:                              ;   in Loop: Header=BB6_497 Depth=2
	s_and_saveexec_b32 s15, s6
	s_cbranch_execz .LBB6_710
; %bb.698:                              ;   in Loop: Header=BB6_497 Depth=2
	s_mov_b32 s17, exec_lo
	s_mov_b32 s16, exec_lo
	v_mbcnt_lo_u32_b32 v2, s17, 0
	;;#ASMSTART
	s_waitcnt lgkmcnt(0) vmcnt(0)
	;;#ASMEND
	s_delay_alu instid0(VALU_DEP_1)
	v_cmpx_eq_u32_e32 0, v2
	s_cbranch_execz .LBB6_700
; %bb.699:                              ;   in Loop: Header=BB6_497 Depth=2
	s_bcnt1_i32_b32 s17, s17
	s_delay_alu instid0(SALU_CYCLE_1)
	v_mov_b32_e32 v2, s17
	s_wait_storecnt 0x0
	s_wait_loadcnt_dscnt 0x0
	ds_add_u64 v2, v[2:3]
	s_trap 2
.LBB6_700:                              ;   in Loop: Header=BB6_497 Depth=2
	s_or_b32 exec_lo, exec_lo, s16
	s_trap 2
	ds_load_b64 v[8:9], v2
	s_wait_dscnt 0x0
	v_add_nc_u64_e32 v[36:37], v[36:37], v[48:49]
	s_mov_b32 s16, exec_lo
	s_delay_alu instid0(VALU_DEP_1)
	v_cmpx_lt_u64_e64 v[8:9], v[36:37]
	s_cbranch_execz .LBB6_709
; %bb.701:                              ;   in Loop: Header=BB6_497 Depth=2
	s_mov_b32 s17, 0
	s_mov_b32 s45, 0
                                        ; implicit-def: $sgpr20
                                        ; implicit-def: $sgpr44
	s_branch .LBB6_703
.LBB6_702:                              ;   in Loop: Header=BB6_703 Depth=3
	s_or_b32 exec_lo, exec_lo, s76
	s_delay_alu instid0(SALU_CYCLE_1) | instskip(NEXT) | instid1(SALU_CYCLE_1)
	s_and_b32 s75, exec_lo, s77
	s_or_b32 s17, s75, s17
	s_and_not1_b32 s20, s20, exec_lo
	s_and_b32 s75, s44, exec_lo
	s_delay_alu instid0(SALU_CYCLE_1)
	s_or_b32 s20, s20, s75
	s_and_not1_b32 exec_lo, exec_lo, s17
	s_cbranch_execz .LBB6_707
.LBB6_703:                              ;   Parent Loop BB6_47 Depth=1
                                        ;     Parent Loop BB6_497 Depth=2
                                        ; =>    This Inner Loop Header: Depth=3
	s_add_co_i32 s45, s45, 1
	s_delay_alu instid0(SALU_CYCLE_1) | instskip(SKIP_1) | instid1(SALU_CYCLE_1)
	s_cmp_lg_u32 s45, 0x2710
	s_cselect_b32 s75, -1, 0
	s_and_b32 vcc_lo, exec_lo, s75
	s_cbranch_vccz .LBB6_705
; %bb.704:                              ;   in Loop: Header=BB6_703 Depth=3
	s_mov_b32 s77, -1
	s_or_b32 s44, s44, exec_lo
	s_and_saveexec_b32 s76, s75
	s_cbranch_execz .LBB6_702
	s_branch .LBB6_706
.LBB6_705:                              ;   in Loop: Header=BB6_703 Depth=3
	s_trap 2
	ds_load_b64 v[8:9], v2
	s_and_not1_b32 s75, s75, exec_lo
	s_mov_b32 s45, 0
	s_wait_storecnt 0x0
	s_wait_loadcnt_dscnt 0x0
	flat_load_b32 v2, v[8:9] scope:SCOPE_SYS
	s_wait_loadcnt_dscnt 0x0
	global_inv scope:SCOPE_SYS
	v_cmp_eq_u32_e32 vcc_lo, 0, v2
	s_and_b32 s76, vcc_lo, exec_lo
	s_delay_alu instid0(SALU_CYCLE_1)
	s_or_b32 s75, s75, s76
	s_mov_b32 s77, -1
	s_or_b32 s44, s44, exec_lo
	s_and_saveexec_b32 s76, s75
	s_cbranch_execz .LBB6_702
.LBB6_706:                              ;   in Loop: Header=BB6_703 Depth=3
	s_sleep 1
	s_trap 2
	ds_load_b64 v[8:9], v2
	s_wait_dscnt 0x0
	s_and_not1_b32 s44, s44, exec_lo
	v_cmp_ge_u64_e32 vcc_lo, v[8:9], v[36:37]
	s_or_not1_b32 s77, vcc_lo, exec_lo
	s_branch .LBB6_702
.LBB6_707:                              ;   in Loop: Header=BB6_497 Depth=2
	s_or_b32 exec_lo, exec_lo, s17
	s_and_saveexec_b32 s17, s20
	s_delay_alu instid0(SALU_CYCLE_1)
	s_xor_b32 s17, exec_lo, s17
	s_cbranch_execz .LBB6_709
; %bb.708:                              ;   in Loop: Header=BB6_497 Depth=2
	ds_store_b32 v2, v121
	s_trap 2
.LBB6_709:                              ;   in Loop: Header=BB6_497 Depth=2
	s_or_b32 exec_lo, exec_lo, s16
	;;#ASMSTART
	s_wakeup
	;;#ASMEND
.LBB6_710:                              ;   in Loop: Header=BB6_497 Depth=2
	s_or_b32 exec_lo, exec_lo, s15
.LBB6_711:                              ;   in Loop: Header=BB6_497 Depth=2
	s_and_not1_saveexec_b32 s14, s14
	s_cbranch_execz .LBB6_713
; %bb.712:                              ;   in Loop: Header=BB6_497 Depth=2
	;;#ASMSTART
	s_waitcnt lgkmcnt(0) vmcnt(0)
	;;#ASMEND
	s_barrier_signal -1
	s_barrier_wait -1
.LBB6_713:                              ;   in Loop: Header=BB6_497 Depth=2
	s_or_b32 exec_lo, exec_lo, s14
	v_and_b32_e32 v2, 16, v30
.LBB6_714:                              ;   in Loop: Header=BB6_497 Depth=2
	s_or_b32 exec_lo, exec_lo, s13
	s_delay_alu instid0(VALU_DEP_1) | instskip(SKIP_1) | instid1(SALU_CYCLE_1)
	v_cmp_ne_u32_e32 vcc_lo, 0, v2
	s_xor_b32 s13, s4, -1
	s_and_b32 s14, vcc_lo, s13
	s_delay_alu instid0(SALU_CYCLE_1)
	s_and_saveexec_b32 s13, s14
	s_cbranch_execz .LBB6_716
; %bb.715:                              ;   in Loop: Header=BB6_497 Depth=2
	global_wb scope:SCOPE_SYS
	s_wait_storecnt 0x0
	s_wait_loadcnt_dscnt 0x0
	flat_store_b32 v[34:35], v121 scope:SCOPE_SYS
.LBB6_716:                              ;   in Loop: Header=BB6_497 Depth=2
	s_wait_xcnt 0x0
	s_or_b32 exec_lo, exec_lo, s13
	v_and_b32_e32 v2, 48, v30
	s_mov_b32 s13, exec_lo
	s_delay_alu instid0(VALU_DEP_1)
	v_cmpx_ne_u32_e32 0, v2
	s_cbranch_execz .LBB6_496
; %bb.717:                              ;   in Loop: Header=BB6_497 Depth=2
	v_add_nc_u64_e32 v[112:113], 2, v[112:113]
	global_wb scope:SCOPE_SYS
	s_wait_storecnt 0x0
	s_wait_loadcnt_dscnt 0x0
	flat_store_b64 v[26:27], v[112:113] scope:SCOPE_SYS
	s_branch .LBB6_496
.LBB6_718:                              ;   in Loop: Header=BB6_47 Depth=1
	s_or_b32 exec_lo, exec_lo, s72
.LBB6_719:                              ;   in Loop: Header=BB6_47 Depth=1
	s_delay_alu instid0(SALU_CYCLE_1) | instskip(NEXT) | instid1(SALU_CYCLE_1)
	s_or_b32 exec_lo, exec_lo, s41
	s_mov_b32 s14, exec_lo
	v_cmpx_gt_i32_e32 2, v2
	s_cbranch_execz .LBB6_795
; %bb.720:                              ;   in Loop: Header=BB6_47 Depth=1
	v_cmp_eq_u32_e64 s16, 0, v2
	s_mov_b32 s15, 0
	s_branch .LBB6_722
.LBB6_721:                              ;   in Loop: Header=BB6_722 Depth=2
	s_wait_xcnt 0x0
	s_or_b32 exec_lo, exec_lo, s13
	v_add_nc_u32_e32 v40, v118, v40
	s_mov_b32 s16, 0
	s_and_not1_b32 exec_lo, exec_lo, s15
	s_cbranch_execz .LBB6_794
.LBB6_722:                              ;   Parent Loop BB6_47 Depth=1
                                        ; =>  This Loop Header: Depth=2
                                        ;       Child Loop BB6_728 Depth 3
                                        ;       Child Loop BB6_756 Depth 3
	;; [unrolled: 1-line block ×3, first 2 shown]
	s_delay_alu instid0(VALU_DEP_1) | instskip(SKIP_1) | instid1(VALU_DEP_1)
	v_dual_sub_nc_u32 v2, v124, v40 :: v_dual_bitop2_b32 v8, 12, v30 bitop3:0x40
	s_mov_b32 s17, exec_lo
	v_min_i32_e32 v118, v118, v2
	s_delay_alu instid0(VALU_DEP_2)
	v_cmpx_ne_u32_e32 0, v8
	s_cbranch_execz .LBB6_748
; %bb.723:                              ;   in Loop: Header=BB6_722 Depth=2
	v_and_b32_e32 v2, 8, v30
	v_add_nc_u64_e32 v[8:9], 2, v[112:113]
	s_mov_b32 s20, exec_lo
	s_wait_loadcnt_dscnt 0x1
	s_delay_alu instid0(VALU_DEP_2) | instskip(NEXT) | instid1(VALU_DEP_1)
	v_add_nc_u64_e32 v[10:11], v[38:39], v[2:3]
	v_cmpx_lt_u64_e64 v[10:11], v[8:9]
	s_cbranch_execz .LBB6_735
; %bb.724:                              ;   in Loop: Header=BB6_722 Depth=2
	v_and_b32_e32 v10, 64, v30
	s_mov_b32 s41, 0
	s_mov_b32 s73, 0
                                        ; implicit-def: $sgpr44
                                        ; implicit-def: $sgpr45
                                        ; implicit-def: $sgpr72
	s_delay_alu instid0(VALU_DEP_1)
	v_cmp_eq_u32_e32 vcc_lo, 0, v10
	s_branch .LBB6_728
.LBB6_725:                              ;   in Loop: Header=BB6_728 Depth=3
	s_wait_loadcnt_dscnt 0x0
	v_add_nc_u64_e32 v[12:13], v[38:39], v[2:3]
	s_or_b32 s76, s76, exec_lo
	s_delay_alu instid0(VALU_DEP_1)
	v_cmp_ge_u64_e64 s13, v[12:13], v[8:9]
	s_or_not1_b32 s75, s13, exec_lo
.LBB6_726:                              ;   in Loop: Header=BB6_728 Depth=3
	s_or_b32 exec_lo, exec_lo, s78
	s_delay_alu instid0(SALU_CYCLE_1)
	s_and_not1_b32 s13, s72, exec_lo
	s_and_b32 s72, s76, exec_lo
	s_and_not1_b32 s45, s45, exec_lo
	s_and_b32 s75, s75, exec_lo
	s_or_b32 s72, s13, s72
	s_or_b32 s45, s45, s75
.LBB6_727:                              ;   in Loop: Header=BB6_728 Depth=3
	s_or_b32 exec_lo, exec_lo, s74
	s_delay_alu instid0(SALU_CYCLE_1) | instskip(NEXT) | instid1(SALU_CYCLE_1)
	s_and_b32 s13, exec_lo, s45
	s_or_b32 s41, s13, s41
	s_and_not1_b32 s13, s44, exec_lo
	s_and_b32 s44, s72, exec_lo
	s_delay_alu instid0(SALU_CYCLE_1)
	s_or_b32 s44, s13, s44
	s_and_not1_b32 exec_lo, exec_lo, s41
	s_cbranch_execz .LBB6_732
.LBB6_728:                              ;   Parent Loop BB6_47 Depth=1
                                        ;     Parent Loop BB6_722 Depth=2
                                        ; =>    This Inner Loop Header: Depth=3
	s_sleep 1
	s_wait_loadcnt_dscnt 0x0
	flat_load_b64 v[38:39], v[26:27] scope:SCOPE_SYS
	s_or_b32 s72, s72, exec_lo
	s_or_b32 s45, s45, exec_lo
                                        ; implicit-def: $vgpr10
	s_wait_xcnt 0x0
	s_and_saveexec_b32 s74, vcc_lo
	s_cbranch_execz .LBB6_727
; %bb.729:                              ;   in Loop: Header=BB6_728 Depth=3
	s_cmp_lt_i32 s73, 0x270f
	s_mov_b32 s75, -1
	s_cselect_b32 s77, -1, 0
	s_cmp_gt_i32 s73, 0x270e
	s_cbranch_scc0 .LBB6_731
; %bb.730:                              ;   in Loop: Header=BB6_728 Depth=3
	s_trap 2
	ds_load_b64 v[10:11], v11
	s_and_not1_b32 s73, s77, exec_lo
	s_mov_b32 s76, 0
	s_wait_storecnt 0x0
	s_wait_loadcnt_dscnt 0x0
	flat_load_b32 v10, v[10:11] scope:SCOPE_SYS
	s_wait_loadcnt_dscnt 0x0
	global_inv scope:SCOPE_SYS
	v_cmp_eq_u32_e64 s13, 0, v10
	s_and_b32 s13, s13, exec_lo
	s_delay_alu instid0(SALU_CYCLE_1)
	s_or_b32 s77, s73, s13
	s_mov_b32 s73, 0
	s_and_saveexec_b32 s78, s77
	s_cbranch_execz .LBB6_726
	s_branch .LBB6_725
.LBB6_731:                              ;   in Loop: Header=BB6_728 Depth=3
	s_add_co_i32 s73, s73, 1
	s_mov_b32 s76, -1
                                        ; implicit-def: $vgpr10
	s_and_saveexec_b32 s78, s77
	s_cbranch_execz .LBB6_726
	s_branch .LBB6_725
.LBB6_732:                              ;   in Loop: Header=BB6_722 Depth=2
	s_or_b32 exec_lo, exec_lo, s41
	s_xor_b32 s13, s44, -1
	s_delay_alu instid0(SALU_CYCLE_1) | instskip(NEXT) | instid1(SALU_CYCLE_1)
	s_and_saveexec_b32 s41, s13
	s_xor_b32 s13, exec_lo, s41
	s_cbranch_execz .LBB6_734
; %bb.733:                              ;   in Loop: Header=BB6_722 Depth=2
	v_or_b32_e32 v30, 64, v30
	s_wait_storecnt 0x0
	s_wait_loadcnt_dscnt 0x0
	ds_store_b32 v11, v10
	s_trap 2
.LBB6_734:                              ;   in Loop: Header=BB6_722 Depth=2
	s_or_b32 exec_lo, exec_lo, s13
.LBB6_735:                              ;   in Loop: Header=BB6_722 Depth=2
	s_delay_alu instid0(SALU_CYCLE_1) | instskip(SKIP_2) | instid1(VALU_DEP_1)
	s_or_b32 exec_lo, exec_lo, s20
	v_and_b32_e32 v10, 0x108, v30
	;;#ASMSTART
	s_wakeup
	;;#ASMEND
	v_cmp_ne_u32_e32 vcc_lo, 0x108, v10
                                        ; implicit-def: $vgpr10_vgpr11
	s_and_saveexec_b32 s13, vcc_lo
	s_delay_alu instid0(SALU_CYCLE_1)
	s_xor_b32 s13, exec_lo, s13
; %bb.736:                              ;   in Loop: Header=BB6_722 Depth=2
	v_dual_mov_b32 v11, v3 :: v_dual_bitop2_b32 v10, 7, v112 bitop3:0x40
                                        ; implicit-def: $vgpr112_vgpr113
; %bb.737:                              ;   in Loop: Header=BB6_722 Depth=2
	s_and_not1_saveexec_b32 s13, s13
	s_cbranch_execz .LBB6_739
; %bb.738:                              ;   in Loop: Header=BB6_722 Depth=2
	v_dual_ashrrev_i32 v119, 31, v118 :: v_dual_bitop2_b32 v10, 7, v112 bitop3:0x40
	v_mov_b32_e32 v11, v3
	s_delay_alu instid0(VALU_DEP_2) | instskip(NEXT) | instid1(VALU_DEP_3)
	v_mad_nc_u64_u32 v[12:13], v10, 24, v[6:7]
	v_lshlrev_b64_e32 v[14:15], 3, v[118:119]
	flat_store_b64 v[12:13], v[14:15] offset:8
.LBB6_739:                              ;   in Loop: Header=BB6_722 Depth=2
	s_wait_xcnt 0x0
	s_or_b32 exec_lo, exec_lo, s13
	v_and_b32_e32 v12, 0x100, v30
	s_mov_b32 s13, -1
	s_delay_alu instid0(VALU_DEP_1)
	v_cmp_ne_u32_e32 vcc_lo, 0, v12
                                        ; implicit-def: $vgpr12_vgpr13
	s_and_saveexec_b32 s20, vcc_lo
	s_cbranch_execz .LBB6_743
; %bb.740:                              ;   in Loop: Header=BB6_722 Depth=2
	v_mad_nc_u64_u32 v[14:15], v10, 24, v[6:7]
	s_delay_alu instid0(VALU_DEP_1)
	v_mad_u32 v15, v11, 24, v15
	flat_load_b32 v12, v[14:15]
	s_wait_loadcnt_dscnt 0x0
	v_cmp_eq_u32_e64 s13, 1, v12
	v_cmp_ne_u32_e32 vcc_lo, 1, v12
                                        ; implicit-def: $vgpr12_vgpr13
	s_wait_xcnt 0x0
	s_and_saveexec_b32 s41, s13
	s_cbranch_execz .LBB6_742
; %bb.741:                              ;   in Loop: Header=BB6_722 Depth=2
	flat_load_b32 v12, v[14:15] offset:4 scope:SCOPE_SYS
	s_wait_loadcnt_dscnt 0x0
	v_ashrrev_i32_e32 v13, 31, v12
	s_delay_alu instid0(VALU_DEP_1)
	v_lshrrev_b64 v[12:13], 3, v[12:13]
.LBB6_742:                              ;   in Loop: Header=BB6_722 Depth=2
	s_wait_xcnt 0x0
	s_or_b32 exec_lo, exec_lo, s41
	s_delay_alu instid0(SALU_CYCLE_1)
	s_or_not1_b32 s13, vcc_lo, exec_lo
.LBB6_743:                              ;   in Loop: Header=BB6_722 Depth=2
	s_or_b32 exec_lo, exec_lo, s20
	s_and_saveexec_b32 s20, s13
; %bb.744:                              ;   in Loop: Header=BB6_722 Depth=2
	v_mul_u64_e32 v[12:13], v[10:11], v[28:29]
; %bb.745:                              ;   in Loop: Header=BB6_722 Depth=2
	s_or_b32 exec_lo, exec_lo, s20
	v_cmp_eq_u32_e32 vcc_lo, 0, v2
	v_and_b32_e32 v14, 0x2000, v30
	s_delay_alu instid0(VALU_DEP_3) | instskip(SKIP_2) | instid1(VALU_DEP_1)
	v_lshl_add_u64 v[10:11], v[12:13], 3, v[32:33]
	s_mov_b32 s13, exec_lo
	v_cndmask_b32_e32 v2, 0xd0, v122, vcc_lo
	v_add_nc_u32_e32 v2, v0, v2
	ds_store_b64 v2, v[10:11] offset:584
	v_cmpx_ne_u32_e32 0, v14
	s_cbranch_execz .LBB6_747
; %bb.746:                              ;   in Loop: Header=BB6_722 Depth=2
	ds_load_b64 v[10:11], v0 offset:872
	s_wait_dscnt 0x0
	v_add_nc_u64_e32 v[10:11], 1, v[10:11]
	ds_store_b64 v0, v[10:11] offset:872
.LBB6_747:                              ;   in Loop: Header=BB6_722 Depth=2
	s_or_b32 exec_lo, exec_lo, s13
	v_mov_b64_e32 v[112:113], v[8:9]
.LBB6_748:                              ;   in Loop: Header=BB6_722 Depth=2
	s_or_b32 exec_lo, exec_lo, s17
	s_xor_b32 s13, s16, -1
	s_delay_alu instid0(SALU_CYCLE_1) | instskip(NEXT) | instid1(SALU_CYCLE_1)
	s_and_b32 s13, exec_lo, s13
	s_or_b32 s15, s13, s15
	s_and_saveexec_b32 s13, s2
	s_cbranch_execz .LBB6_767
; %bb.749:                              ;   in Loop: Header=BB6_722 Depth=2
	s_and_saveexec_b32 s16, s3
	s_delay_alu instid0(SALU_CYCLE_1)
	s_xor_b32 s16, exec_lo, s16
	s_cbranch_execz .LBB6_764
; %bb.750:                              ;   in Loop: Header=BB6_722 Depth=2
	s_and_saveexec_b32 s17, s6
	s_cbranch_execz .LBB6_763
; %bb.751:                              ;   in Loop: Header=BB6_722 Depth=2
	s_mov_b32 s41, exec_lo
	s_mov_b32 s20, exec_lo
	v_mbcnt_lo_u32_b32 v2, s41, 0
	global_wb scope:SCOPE_DEV
	s_wait_storecnt 0x0
	s_wait_loadcnt_dscnt 0x0
	global_inv scope:SCOPE_DEV
	v_cmpx_eq_u32_e32 0, v2
	s_cbranch_execz .LBB6_753
; %bb.752:                              ;   in Loop: Header=BB6_722 Depth=2
	s_bcnt1_i32_b32 s41, s41
	s_delay_alu instid0(SALU_CYCLE_1)
	v_mov_b32_e32 v2, s41
	s_wait_loadcnt 0x0
	ds_add_u64 v2, v[2:3]
	s_trap 2
.LBB6_753:                              ;   in Loop: Header=BB6_722 Depth=2
	s_or_b32 exec_lo, exec_lo, s20
	s_trap 2
	ds_load_b64 v[8:9], v2
	s_wait_dscnt 0x0
	v_add_nc_u64_e32 v[36:37], v[36:37], v[48:49]
	s_mov_b32 s20, exec_lo
	s_delay_alu instid0(VALU_DEP_1)
	v_cmpx_lt_u64_e64 v[8:9], v[36:37]
	s_cbranch_execz .LBB6_762
; %bb.754:                              ;   in Loop: Header=BB6_722 Depth=2
	s_mov_b32 s41, 0
	s_mov_b32 s72, 0
                                        ; implicit-def: $sgpr44
                                        ; implicit-def: $sgpr45
	s_branch .LBB6_756
.LBB6_755:                              ;   in Loop: Header=BB6_756 Depth=3
	s_or_b32 exec_lo, exec_lo, s74
	s_delay_alu instid0(SALU_CYCLE_1) | instskip(NEXT) | instid1(SALU_CYCLE_1)
	s_and_b32 s73, exec_lo, s75
	s_or_b32 s41, s73, s41
	s_and_not1_b32 s44, s44, exec_lo
	s_and_b32 s73, s45, exec_lo
	s_delay_alu instid0(SALU_CYCLE_1)
	s_or_b32 s44, s44, s73
	s_and_not1_b32 exec_lo, exec_lo, s41
	s_cbranch_execz .LBB6_760
.LBB6_756:                              ;   Parent Loop BB6_47 Depth=1
                                        ;     Parent Loop BB6_722 Depth=2
                                        ; =>    This Inner Loop Header: Depth=3
	s_add_co_i32 s72, s72, 1
	s_delay_alu instid0(SALU_CYCLE_1) | instskip(SKIP_1) | instid1(SALU_CYCLE_1)
	s_cmp_lg_u32 s72, 0x2710
	s_cselect_b32 s73, -1, 0
	s_and_b32 vcc_lo, exec_lo, s73
	s_cbranch_vccz .LBB6_758
; %bb.757:                              ;   in Loop: Header=BB6_756 Depth=3
	s_mov_b32 s75, -1
	s_or_b32 s45, s45, exec_lo
	s_and_saveexec_b32 s74, s73
	s_cbranch_execz .LBB6_755
	s_branch .LBB6_759
.LBB6_758:                              ;   in Loop: Header=BB6_756 Depth=3
	s_trap 2
	ds_load_b64 v[8:9], v2
	s_and_not1_b32 s73, s73, exec_lo
	s_mov_b32 s72, 0
	s_wait_loadcnt_dscnt 0x0
	flat_load_b32 v2, v[8:9] scope:SCOPE_SYS
	s_wait_loadcnt_dscnt 0x0
	global_inv scope:SCOPE_SYS
	v_cmp_eq_u32_e32 vcc_lo, 0, v2
	s_and_b32 s74, vcc_lo, exec_lo
	s_delay_alu instid0(SALU_CYCLE_1)
	s_or_b32 s73, s73, s74
	s_mov_b32 s75, -1
	s_or_b32 s45, s45, exec_lo
	s_and_saveexec_b32 s74, s73
	s_cbranch_execz .LBB6_755
.LBB6_759:                              ;   in Loop: Header=BB6_756 Depth=3
	s_sleep 1
	s_trap 2
	ds_load_b64 v[8:9], v2
	s_wait_dscnt 0x0
	s_and_not1_b32 s45, s45, exec_lo
	v_cmp_ge_u64_e32 vcc_lo, v[8:9], v[36:37]
	s_or_not1_b32 s75, vcc_lo, exec_lo
	s_branch .LBB6_755
.LBB6_760:                              ;   in Loop: Header=BB6_722 Depth=2
	s_or_b32 exec_lo, exec_lo, s41
	s_and_saveexec_b32 s41, s44
	s_delay_alu instid0(SALU_CYCLE_1)
	s_xor_b32 s41, exec_lo, s41
	s_cbranch_execz .LBB6_762
; %bb.761:                              ;   in Loop: Header=BB6_722 Depth=2
	ds_store_b32 v2, v121
	s_trap 2
.LBB6_762:                              ;   in Loop: Header=BB6_722 Depth=2
	s_or_b32 exec_lo, exec_lo, s20
	;;#ASMSTART
	s_wakeup
	;;#ASMEND
.LBB6_763:                              ;   in Loop: Header=BB6_722 Depth=2
	s_or_b32 exec_lo, exec_lo, s17
.LBB6_764:                              ;   in Loop: Header=BB6_722 Depth=2
	s_and_not1_saveexec_b32 s16, s16
	s_cbranch_execz .LBB6_766
; %bb.765:                              ;   in Loop: Header=BB6_722 Depth=2
	global_wb scope:SCOPE_DEV
	s_wait_storecnt 0x0
	s_wait_loadcnt_dscnt 0x0
	global_inv scope:SCOPE_DEV
	s_barrier_signal -1
	s_barrier_wait -1
.LBB6_766:                              ;   in Loop: Header=BB6_722 Depth=2
	s_or_b32 exec_lo, exec_lo, s16
.LBB6_767:                              ;   in Loop: Header=BB6_722 Depth=2
	s_delay_alu instid0(SALU_CYCLE_1) | instskip(SKIP_1) | instid1(SALU_CYCLE_1)
	s_or_b32 exec_lo, exec_lo, s13
                                        ; implicit-def: $vgpr2
	s_and_saveexec_b32 s13, s12
	s_xor_b32 s16, exec_lo, s13
	s_cbranch_execz .LBB6_771
; %bb.768:                              ;   in Loop: Header=BB6_722 Depth=2
	s_trap 2
	ds_load_b32 v2, v8
	v_cmp_lt_i32_e32 vcc_lo, 0, v118
	s_wait_dscnt 0x0
	v_readfirstlane_b32 s13, v2
	v_and_b32_e32 v2, 16, v30
	s_cmp_eq_u32 s13, 0
	s_delay_alu instid0(VALU_DEP_1) | instskip(SKIP_3) | instid1(SALU_CYCLE_1)
	v_cmp_ne_u32_e64 s13, 0, v2
	s_cselect_b32 s17, -1, 0
	v_and_b32_e32 v2, 16, v30
	s_and_b32 s17, vcc_lo, s17
	s_and_b32 s17, s13, s17
	s_delay_alu instid0(SALU_CYCLE_1)
	s_and_saveexec_b32 s13, s17
	s_cbranch_execz .LBB6_770
; %bb.769:                              ;   in Loop: Header=BB6_722 Depth=2
	v_mov_b32_e32 v2, 1
	global_wb scope:SCOPE_SYS
	s_wait_loadcnt 0x0
	s_wait_storecnt 0x0
	global_inv scope:SCOPE_SYS
.LBB6_770:                              ;   in Loop: Header=BB6_722 Depth=2
	s_or_b32 exec_lo, exec_lo, s13
	s_and_not1_saveexec_b32 s13, s16
	s_cbranch_execz .LBB6_790
	s_branch .LBB6_772
.LBB6_771:                              ;   in Loop: Header=BB6_722 Depth=2
	s_and_not1_saveexec_b32 s13, s16
	s_cbranch_execz .LBB6_790
.LBB6_772:                              ;   in Loop: Header=BB6_722 Depth=2
	s_and_saveexec_b32 s16, s3
	s_delay_alu instid0(SALU_CYCLE_1)
	s_xor_b32 s16, exec_lo, s16
	s_cbranch_execz .LBB6_787
; %bb.773:                              ;   in Loop: Header=BB6_722 Depth=2
	s_and_saveexec_b32 s17, s6
	s_cbranch_execz .LBB6_786
; %bb.774:                              ;   in Loop: Header=BB6_722 Depth=2
	s_mov_b32 s41, exec_lo
	s_mov_b32 s20, exec_lo
	v_mbcnt_lo_u32_b32 v2, s41, 0
	;;#ASMSTART
	s_waitcnt lgkmcnt(0) vmcnt(0)
	;;#ASMEND
	s_delay_alu instid0(VALU_DEP_1)
	v_cmpx_eq_u32_e32 0, v2
	s_cbranch_execz .LBB6_776
; %bb.775:                              ;   in Loop: Header=BB6_722 Depth=2
	s_bcnt1_i32_b32 s41, s41
	s_delay_alu instid0(SALU_CYCLE_1)
	v_mov_b32_e32 v2, s41
	s_wait_storecnt 0x0
	s_wait_loadcnt_dscnt 0x0
	ds_add_u64 v2, v[2:3]
	s_trap 2
.LBB6_776:                              ;   in Loop: Header=BB6_722 Depth=2
	s_or_b32 exec_lo, exec_lo, s20
	s_trap 2
	ds_load_b64 v[8:9], v2
	s_wait_dscnt 0x0
	v_add_nc_u64_e32 v[36:37], v[36:37], v[48:49]
	s_mov_b32 s20, exec_lo
	s_delay_alu instid0(VALU_DEP_1)
	v_cmpx_lt_u64_e64 v[8:9], v[36:37]
	s_cbranch_execz .LBB6_785
; %bb.777:                              ;   in Loop: Header=BB6_722 Depth=2
	s_mov_b32 s41, 0
	s_mov_b32 s72, 0
                                        ; implicit-def: $sgpr44
                                        ; implicit-def: $sgpr45
	s_branch .LBB6_779
.LBB6_778:                              ;   in Loop: Header=BB6_779 Depth=3
	s_or_b32 exec_lo, exec_lo, s74
	s_delay_alu instid0(SALU_CYCLE_1) | instskip(NEXT) | instid1(SALU_CYCLE_1)
	s_and_b32 s73, exec_lo, s75
	s_or_b32 s41, s73, s41
	s_and_not1_b32 s44, s44, exec_lo
	s_and_b32 s73, s45, exec_lo
	s_delay_alu instid0(SALU_CYCLE_1)
	s_or_b32 s44, s44, s73
	s_and_not1_b32 exec_lo, exec_lo, s41
	s_cbranch_execz .LBB6_783
.LBB6_779:                              ;   Parent Loop BB6_47 Depth=1
                                        ;     Parent Loop BB6_722 Depth=2
                                        ; =>    This Inner Loop Header: Depth=3
	s_add_co_i32 s72, s72, 1
	s_delay_alu instid0(SALU_CYCLE_1) | instskip(SKIP_1) | instid1(SALU_CYCLE_1)
	s_cmp_lg_u32 s72, 0x2710
	s_cselect_b32 s73, -1, 0
	s_and_b32 vcc_lo, exec_lo, s73
	s_cbranch_vccz .LBB6_781
; %bb.780:                              ;   in Loop: Header=BB6_779 Depth=3
	s_mov_b32 s75, -1
	s_or_b32 s45, s45, exec_lo
	s_and_saveexec_b32 s74, s73
	s_cbranch_execz .LBB6_778
	s_branch .LBB6_782
.LBB6_781:                              ;   in Loop: Header=BB6_779 Depth=3
	s_trap 2
	ds_load_b64 v[8:9], v2
	s_and_not1_b32 s73, s73, exec_lo
	s_mov_b32 s72, 0
	s_wait_storecnt 0x0
	s_wait_loadcnt_dscnt 0x0
	flat_load_b32 v2, v[8:9] scope:SCOPE_SYS
	s_wait_loadcnt_dscnt 0x0
	global_inv scope:SCOPE_SYS
	v_cmp_eq_u32_e32 vcc_lo, 0, v2
	s_and_b32 s74, vcc_lo, exec_lo
	s_delay_alu instid0(SALU_CYCLE_1)
	s_or_b32 s73, s73, s74
	s_mov_b32 s75, -1
	s_or_b32 s45, s45, exec_lo
	s_and_saveexec_b32 s74, s73
	s_cbranch_execz .LBB6_778
.LBB6_782:                              ;   in Loop: Header=BB6_779 Depth=3
	s_sleep 1
	s_trap 2
	ds_load_b64 v[8:9], v2
	s_wait_dscnt 0x0
	s_and_not1_b32 s45, s45, exec_lo
	v_cmp_ge_u64_e32 vcc_lo, v[8:9], v[36:37]
	s_or_not1_b32 s75, vcc_lo, exec_lo
	s_branch .LBB6_778
.LBB6_783:                              ;   in Loop: Header=BB6_722 Depth=2
	s_or_b32 exec_lo, exec_lo, s41
	s_and_saveexec_b32 s41, s44
	s_delay_alu instid0(SALU_CYCLE_1)
	s_xor_b32 s41, exec_lo, s41
	s_cbranch_execz .LBB6_785
; %bb.784:                              ;   in Loop: Header=BB6_722 Depth=2
	ds_store_b32 v2, v121
	s_trap 2
.LBB6_785:                              ;   in Loop: Header=BB6_722 Depth=2
	s_or_b32 exec_lo, exec_lo, s20
	;;#ASMSTART
	s_wakeup
	;;#ASMEND
.LBB6_786:                              ;   in Loop: Header=BB6_722 Depth=2
	s_or_b32 exec_lo, exec_lo, s17
.LBB6_787:                              ;   in Loop: Header=BB6_722 Depth=2
	s_and_not1_saveexec_b32 s16, s16
	s_cbranch_execz .LBB6_789
; %bb.788:                              ;   in Loop: Header=BB6_722 Depth=2
	;;#ASMSTART
	s_waitcnt lgkmcnt(0) vmcnt(0)
	;;#ASMEND
	s_barrier_signal -1
	s_barrier_wait -1
.LBB6_789:                              ;   in Loop: Header=BB6_722 Depth=2
	s_or_b32 exec_lo, exec_lo, s16
	v_and_b32_e32 v2, 16, v30
.LBB6_790:                              ;   in Loop: Header=BB6_722 Depth=2
	s_or_b32 exec_lo, exec_lo, s13
	s_delay_alu instid0(VALU_DEP_1) | instskip(SKIP_1) | instid1(SALU_CYCLE_1)
	v_cmp_ne_u32_e32 vcc_lo, 0, v2
	s_xor_b32 s13, s4, -1
	s_and_b32 s16, vcc_lo, s13
	s_delay_alu instid0(SALU_CYCLE_1)
	s_and_saveexec_b32 s13, s16
	s_cbranch_execz .LBB6_792
; %bb.791:                              ;   in Loop: Header=BB6_722 Depth=2
	global_wb scope:SCOPE_SYS
	s_wait_storecnt 0x0
	s_wait_loadcnt_dscnt 0x0
	flat_store_b32 v[34:35], v121 scope:SCOPE_SYS
.LBB6_792:                              ;   in Loop: Header=BB6_722 Depth=2
	s_wait_xcnt 0x0
	s_or_b32 exec_lo, exec_lo, s13
	v_and_b32_e32 v2, 48, v30
	s_mov_b32 s13, exec_lo
	s_delay_alu instid0(VALU_DEP_1)
	v_cmpx_ne_u32_e32 0, v2
	s_cbranch_execz .LBB6_721
; %bb.793:                              ;   in Loop: Header=BB6_722 Depth=2
	v_add_nc_u64_e32 v[112:113], 2, v[112:113]
	global_wb scope:SCOPE_SYS
	s_wait_storecnt 0x0
	s_wait_loadcnt_dscnt 0x0
	flat_store_b64 v[26:27], v[112:113] scope:SCOPE_SYS
	s_branch .LBB6_721
.LBB6_794:                              ;   in Loop: Header=BB6_47 Depth=1
	s_or_b32 exec_lo, exec_lo, s15
.LBB6_795:                              ;   in Loop: Header=BB6_47 Depth=1
	s_delay_alu instid0(SALU_CYCLE_1) | instskip(NEXT) | instid1(SALU_CYCLE_1)
	s_or_b32 exec_lo, exec_lo, s14
	s_and_not1_b32 vcc_lo, exec_lo, s58
	s_cbranch_vccnz .LBB6_1052
; %bb.796:                              ;   in Loop: Header=BB6_47 Depth=1
	s_mov_b32 s20, 1
.LBB6_797:                              ;   Parent Loop BB6_47 Depth=1
                                        ; =>  This Loop Header: Depth=2
                                        ;       Child Loop BB6_800 Depth 3
                                        ;         Child Loop BB6_808 Depth 4
                                        ;         Child Loop BB6_836 Depth 4
	;; [unrolled: 1-line block ×5, first 2 shown]
                                        ;           Child Loop BB6_888 Depth 5
                                        ;         Child Loop BB6_895 Depth 4
                                        ;         Child Loop BB6_900 Depth 4
                                        ;           Child Loop BB6_901 Depth 5
                                        ;         Child Loop BB6_913 Depth 4
                                        ;         Child Loop BB6_918 Depth 4
	;; [unrolled: 1-line block ×6, first 2 shown]
                                        ;       Child Loop BB6_977 Depth 3
                                        ;         Child Loop BB6_983 Depth 4
                                        ;         Child Loop BB6_1011 Depth 4
	;; [unrolled: 1-line block ×3, first 2 shown]
	s_delay_alu instid0(SALU_CYCLE_1) | instskip(SKIP_4) | instid1(SALU_CYCLE_1)
	s_sub_co_i32 s13, s56, s20
	s_mov_b32 s44, 0
	s_cmp_ge_i32 s13, s18
	v_mov_b32_e32 v14, 0
	s_cselect_b32 s14, s18, 0
	s_sub_co_i32 s14, s13, s14
	s_delay_alu instid0(SALU_CYCLE_1) | instskip(NEXT) | instid1(SALU_CYCLE_1)
	s_ashr_i32 s15, s14, 31
	v_mul_u64_e32 v[8:9], s[14:15], v[102:103]
	s_delay_alu instid0(VALU_DEP_1) | instskip(NEXT) | instid1(VALU_DEP_1)
	v_sub_nc_u64_e32 v[10:11], v[114:115], v[8:9]
	v_min_i64 v[10:11], v[102:103], v[10:11]
	s_delay_alu instid0(VALU_DEP_1) | instskip(SKIP_1) | instid1(VALU_DEP_2)
	v_max_i32_e32 v22, 0, v10
	v_cmp_lt_i32_e32 vcc_lo, 0, v10
	v_add_nc_u32_e32 v2, 31, v22
	s_and_b32 s13, s61, vcc_lo
	s_delay_alu instid0(VALU_DEP_1) | instskip(NEXT) | instid1(VALU_DEP_1)
	v_lshrrev_b32_e32 v2, 1, v2
	v_and_b32_e32 v11, 0x3ffffff0, v2
	s_delay_alu instid0(VALU_DEP_1)
	v_dual_mov_b32 v2, 0 :: v_dual_max_i32 v12, s57, v11
	s_and_saveexec_b32 s41, s13
	s_cbranch_execz .LBB6_974
; %bb.798:                              ;   in Loop: Header=BB6_797 Depth=2
	v_add_nc_u64_e32 v[8:9], v[8:9], v[116:117]
	v_mov_b32_e32 v14, 0
	s_mov_b32 s72, 1
	s_mov_b32 s45, -1
	s_delay_alu instid0(VALU_DEP_2)
	v_lshlrev_b64_e32 v[16:17], 3, v[8:9]
	s_branch .LBB6_800
.LBB6_799:                              ;   in Loop: Header=BB6_800 Depth=3
	s_wait_xcnt 0x0
	s_or_b32 exec_lo, exec_lo, s13
	v_dual_add_nc_u32 v14, v12, v14 :: v_dual_mov_b32 v2, s72
	s_xor_b32 s13, s45, -1
	s_mov_b32 s45, 0
	s_mov_b32 s72, 2
	s_delay_alu instid0(VALU_DEP_1) | instskip(SKIP_1) | instid1(SALU_CYCLE_1)
	v_cmp_ge_i32_e32 vcc_lo, v14, v22
	s_or_b32 s13, s13, vcc_lo
	s_and_b32 s13, exec_lo, s13
	s_delay_alu instid0(SALU_CYCLE_1) | instskip(NEXT) | instid1(SALU_CYCLE_1)
	s_or_b32 s44, s13, s44
	s_and_not1_b32 exec_lo, exec_lo, s44
	s_cbranch_execz .LBB6_973
.LBB6_800:                              ;   Parent Loop BB6_47 Depth=1
                                        ;     Parent Loop BB6_797 Depth=2
                                        ; =>    This Loop Header: Depth=3
                                        ;         Child Loop BB6_808 Depth 4
                                        ;         Child Loop BB6_836 Depth 4
	;; [unrolled: 1-line block ×5, first 2 shown]
                                        ;           Child Loop BB6_888 Depth 5
                                        ;         Child Loop BB6_895 Depth 4
                                        ;         Child Loop BB6_900 Depth 4
                                        ;           Child Loop BB6_901 Depth 5
                                        ;         Child Loop BB6_913 Depth 4
                                        ;         Child Loop BB6_918 Depth 4
	;; [unrolled: 1-line block ×6, first 2 shown]
	s_and_saveexec_b32 s13, s0
	s_cbranch_execz .LBB6_802
; %bb.801:                              ;   in Loop: Header=BB6_800 Depth=3
	s_trap 2
	ds_load_b128 v[8:11], v2
	s_wait_dscnt 0x0
	v_cmp_ne_u64_e32 vcc_lo, 0, v[10:11]
	v_ashrrev_i32_e32 v15, 31, v14
	v_add_nc_u64_e32 v[52:53], v[10:11], v[16:17]
	v_add_nc_u64_e32 v[8:9], v[8:9], v[16:17]
	s_delay_alu instid0(VALU_DEP_3) | instskip(NEXT) | instid1(VALU_DEP_1)
	v_lshlrev_b64_e32 v[18:19], 3, v[14:15]
	v_add_nc_u64_e32 v[52:53], v[52:53], v[18:19]
	s_delay_alu instid0(VALU_DEP_3) | instskip(NEXT) | instid1(VALU_DEP_2)
	v_add_nc_u64_e32 v[8:9], v[8:9], v[18:19]
	v_dual_cndmask_b32 v11, 0, v53 :: v_dual_cndmask_b32 v10, 0, v52
	ds_store_b64 v2, v[8:9]
	ds_store_b64 v2, v[10:11]
.LBB6_802:                              ;   in Loop: Header=BB6_800 Depth=3
	s_or_b32 exec_lo, exec_lo, s13
	v_sub_nc_u32_e32 v2, v22, v14
	v_and_b32_e32 v8, 12, v30
	s_mov_b32 s14, exec_lo
	s_delay_alu instid0(VALU_DEP_2) | instskip(NEXT) | instid1(VALU_DEP_2)
	v_min_i32_e32 v12, v12, v2
	v_cmpx_ne_u32_e32 0, v8
	s_cbranch_execz .LBB6_828
; %bb.803:                              ;   in Loop: Header=BB6_800 Depth=3
	v_and_b32_e32 v2, 8, v30
	v_add_nc_u64_e32 v[8:9], 2, v[112:113]
	s_mov_b32 s15, exec_lo
	s_wait_loadcnt_dscnt 0x1
	s_delay_alu instid0(VALU_DEP_2) | instskip(NEXT) | instid1(VALU_DEP_1)
	v_add_nc_u64_e32 v[10:11], v[38:39], v[2:3]
	v_cmpx_lt_u64_e64 v[10:11], v[8:9]
	s_cbranch_execz .LBB6_815
; %bb.804:                              ;   in Loop: Header=BB6_800 Depth=3
	v_and_b32_e32 v10, 64, v30
	s_mov_b32 s16, 0
	s_mov_b32 s75, 0
                                        ; implicit-def: $sgpr17
                                        ; implicit-def: $sgpr73
                                        ; implicit-def: $sgpr74
	s_delay_alu instid0(VALU_DEP_1)
	v_cmp_eq_u32_e32 vcc_lo, 0, v10
	s_branch .LBB6_808
.LBB6_805:                              ;   in Loop: Header=BB6_808 Depth=4
	s_wait_loadcnt_dscnt 0x0
	v_add_nc_u64_e32 v[18:19], v[38:39], v[2:3]
	s_or_b32 s78, s78, exec_lo
	s_delay_alu instid0(VALU_DEP_1)
	v_cmp_ge_u64_e64 s13, v[18:19], v[8:9]
	s_or_not1_b32 s77, s13, exec_lo
.LBB6_806:                              ;   in Loop: Header=BB6_808 Depth=4
	s_or_b32 exec_lo, exec_lo, s88
	s_delay_alu instid0(SALU_CYCLE_1)
	s_and_not1_b32 s13, s74, exec_lo
	s_and_b32 s74, s78, exec_lo
	s_and_not1_b32 s73, s73, exec_lo
	s_and_b32 s77, s77, exec_lo
	s_or_b32 s74, s13, s74
	s_or_b32 s73, s73, s77
.LBB6_807:                              ;   in Loop: Header=BB6_808 Depth=4
	s_or_b32 exec_lo, exec_lo, s76
	s_delay_alu instid0(SALU_CYCLE_1) | instskip(NEXT) | instid1(SALU_CYCLE_1)
	s_and_b32 s13, exec_lo, s73
	s_or_b32 s16, s13, s16
	s_and_not1_b32 s13, s17, exec_lo
	s_and_b32 s17, s74, exec_lo
	s_delay_alu instid0(SALU_CYCLE_1)
	s_or_b32 s17, s13, s17
	s_and_not1_b32 exec_lo, exec_lo, s16
	s_cbranch_execz .LBB6_812
.LBB6_808:                              ;   Parent Loop BB6_47 Depth=1
                                        ;     Parent Loop BB6_797 Depth=2
                                        ;       Parent Loop BB6_800 Depth=3
                                        ; =>      This Inner Loop Header: Depth=4
	s_sleep 1
	s_wait_loadcnt_dscnt 0x0
	flat_load_b64 v[38:39], v[26:27] scope:SCOPE_SYS
	s_or_b32 s74, s74, exec_lo
	s_or_b32 s73, s73, exec_lo
                                        ; implicit-def: $vgpr10
	s_wait_xcnt 0x0
	s_and_saveexec_b32 s76, vcc_lo
	s_cbranch_execz .LBB6_807
; %bb.809:                              ;   in Loop: Header=BB6_808 Depth=4
	s_cmp_lt_i32 s75, 0x270f
	s_mov_b32 s77, -1
	s_cselect_b32 s79, -1, 0
	s_cmp_gt_i32 s75, 0x270e
	s_cbranch_scc0 .LBB6_811
; %bb.810:                              ;   in Loop: Header=BB6_808 Depth=4
	s_trap 2
	ds_load_b64 v[10:11], v11
	s_and_not1_b32 s75, s79, exec_lo
	s_mov_b32 s78, 0
	s_wait_storecnt 0x0
	s_wait_loadcnt_dscnt 0x0
	flat_load_b32 v10, v[10:11] scope:SCOPE_SYS
	s_wait_loadcnt_dscnt 0x0
	global_inv scope:SCOPE_SYS
	v_cmp_eq_u32_e64 s13, 0, v10
	s_and_b32 s13, s13, exec_lo
	s_delay_alu instid0(SALU_CYCLE_1)
	s_or_b32 s79, s75, s13
	s_mov_b32 s75, 0
	s_and_saveexec_b32 s88, s79
	s_cbranch_execz .LBB6_806
	s_branch .LBB6_805
.LBB6_811:                              ;   in Loop: Header=BB6_808 Depth=4
	s_add_co_i32 s75, s75, 1
	s_mov_b32 s78, -1
                                        ; implicit-def: $vgpr10
	s_and_saveexec_b32 s88, s79
	s_cbranch_execz .LBB6_806
	s_branch .LBB6_805
.LBB6_812:                              ;   in Loop: Header=BB6_800 Depth=3
	s_or_b32 exec_lo, exec_lo, s16
	s_xor_b32 s13, s17, -1
	s_delay_alu instid0(SALU_CYCLE_1) | instskip(NEXT) | instid1(SALU_CYCLE_1)
	s_and_saveexec_b32 s16, s13
	s_xor_b32 s13, exec_lo, s16
	s_cbranch_execz .LBB6_814
; %bb.813:                              ;   in Loop: Header=BB6_800 Depth=3
	v_or_b32_e32 v30, 64, v30
	s_wait_storecnt 0x0
	s_wait_loadcnt_dscnt 0x0
	ds_store_b32 v11, v10
	s_trap 2
.LBB6_814:                              ;   in Loop: Header=BB6_800 Depth=3
	s_or_b32 exec_lo, exec_lo, s13
.LBB6_815:                              ;   in Loop: Header=BB6_800 Depth=3
	s_delay_alu instid0(SALU_CYCLE_1) | instskip(SKIP_2) | instid1(VALU_DEP_1)
	s_or_b32 exec_lo, exec_lo, s15
	v_and_b32_e32 v10, 0x108, v30
	;;#ASMSTART
	s_wakeup
	;;#ASMEND
	v_cmp_ne_u32_e32 vcc_lo, 0x108, v10
                                        ; implicit-def: $vgpr10_vgpr11
	s_and_saveexec_b32 s13, vcc_lo
	s_delay_alu instid0(SALU_CYCLE_1)
	s_xor_b32 s13, exec_lo, s13
; %bb.816:                              ;   in Loop: Header=BB6_800 Depth=3
	v_dual_mov_b32 v11, v3 :: v_dual_bitop2_b32 v10, 7, v112 bitop3:0x40
                                        ; implicit-def: $vgpr112_vgpr113
; %bb.817:                              ;   in Loop: Header=BB6_800 Depth=3
	s_and_not1_saveexec_b32 s13, s13
	s_cbranch_execz .LBB6_819
; %bb.818:                              ;   in Loop: Header=BB6_800 Depth=3
	v_dual_mov_b32 v11, v3 :: v_dual_bitop2_b32 v10, 7, v112 bitop3:0x40
	v_ashrrev_i32_e32 v13, 31, v12
	s_delay_alu instid0(VALU_DEP_2) | instskip(NEXT) | instid1(VALU_DEP_2)
	v_mad_nc_u64_u32 v[18:19], v10, 24, v[6:7]
	v_lshlrev_b64_e32 v[52:53], 3, v[12:13]
	flat_store_b64 v[18:19], v[52:53] offset:8
.LBB6_819:                              ;   in Loop: Header=BB6_800 Depth=3
	s_wait_xcnt 0x0
	s_or_b32 exec_lo, exec_lo, s13
	v_and_b32_e32 v13, 0x100, v30
	s_mov_b32 s13, -1
	s_mov_b32 s15, exec_lo
                                        ; implicit-def: $vgpr18_vgpr19
	s_delay_alu instid0(VALU_DEP_1)
	v_cmpx_ne_u32_e32 0, v13
	s_cbranch_execz .LBB6_823
; %bb.820:                              ;   in Loop: Header=BB6_800 Depth=3
	v_mad_nc_u64_u32 v[112:113], v10, 24, v[6:7]
	s_mov_b32 s16, exec_lo
                                        ; implicit-def: $vgpr18_vgpr19
	s_delay_alu instid0(VALU_DEP_1)
	v_mad_u32 v113, v11, 24, v113
	flat_load_b32 v13, v[112:113]
	s_wait_loadcnt_dscnt 0x0
	v_cmp_ne_u32_e32 vcc_lo, 1, v13
	s_wait_xcnt 0x0
	v_cmpx_eq_u32_e32 1, v13
	s_cbranch_execz .LBB6_822
; %bb.821:                              ;   in Loop: Header=BB6_800 Depth=3
	flat_load_b32 v18, v[112:113] offset:4 scope:SCOPE_SYS
	s_wait_loadcnt_dscnt 0x0
	v_ashrrev_i32_e32 v19, 31, v18
	s_delay_alu instid0(VALU_DEP_1)
	v_lshrrev_b64 v[18:19], 3, v[18:19]
.LBB6_822:                              ;   in Loop: Header=BB6_800 Depth=3
	s_wait_xcnt 0x0
	s_or_b32 exec_lo, exec_lo, s16
	s_delay_alu instid0(SALU_CYCLE_1)
	s_or_not1_b32 s13, vcc_lo, exec_lo
.LBB6_823:                              ;   in Loop: Header=BB6_800 Depth=3
	s_or_b32 exec_lo, exec_lo, s15
	s_and_saveexec_b32 s15, s13
; %bb.824:                              ;   in Loop: Header=BB6_800 Depth=3
	v_mul_u64_e32 v[18:19], v[10:11], v[28:29]
; %bb.825:                              ;   in Loop: Header=BB6_800 Depth=3
	s_or_b32 exec_lo, exec_lo, s15
	v_cmp_eq_u32_e32 vcc_lo, 0, v2
	v_and_b32_e32 v13, 0x2000, v30
	s_delay_alu instid0(VALU_DEP_3) | instskip(SKIP_2) | instid1(VALU_DEP_1)
	v_lshl_add_u64 v[10:11], v[18:19], 3, v[32:33]
	s_mov_b32 s13, exec_lo
	v_cndmask_b32_e32 v2, 0xd0, v123, vcc_lo
	v_add_nc_u32_e32 v2, v0, v2
	ds_store_b64 v2, v[10:11] offset:584
	v_cmpx_ne_u32_e32 0, v13
	s_cbranch_execz .LBB6_827
; %bb.826:                              ;   in Loop: Header=BB6_800 Depth=3
	ds_load_b64 v[10:11], v0 offset:872
	s_wait_dscnt 0x0
	v_add_nc_u64_e32 v[10:11], 1, v[10:11]
	ds_store_b64 v0, v[10:11] offset:872
.LBB6_827:                              ;   in Loop: Header=BB6_800 Depth=3
	s_or_b32 exec_lo, exec_lo, s13
	v_mov_b64_e32 v[112:113], v[8:9]
.LBB6_828:                              ;   in Loop: Header=BB6_800 Depth=3
	s_or_b32 exec_lo, exec_lo, s14
	s_and_saveexec_b32 s13, s2
	s_cbranch_execz .LBB6_847
; %bb.829:                              ;   in Loop: Header=BB6_800 Depth=3
	s_and_saveexec_b32 s14, s3
	s_delay_alu instid0(SALU_CYCLE_1)
	s_xor_b32 s14, exec_lo, s14
	s_cbranch_execz .LBB6_844
; %bb.830:                              ;   in Loop: Header=BB6_800 Depth=3
	s_and_saveexec_b32 s15, s6
	s_cbranch_execz .LBB6_843
; %bb.831:                              ;   in Loop: Header=BB6_800 Depth=3
	s_mov_b32 s17, exec_lo
	s_mov_b32 s16, exec_lo
	v_mbcnt_lo_u32_b32 v2, s17, 0
	global_wb scope:SCOPE_DEV
	s_wait_storecnt 0x0
	s_wait_loadcnt_dscnt 0x0
	global_inv scope:SCOPE_DEV
	v_cmpx_eq_u32_e32 0, v2
	s_cbranch_execz .LBB6_833
; %bb.832:                              ;   in Loop: Header=BB6_800 Depth=3
	s_bcnt1_i32_b32 s17, s17
	s_delay_alu instid0(SALU_CYCLE_1)
	v_mov_b32_e32 v2, s17
	s_wait_loadcnt 0x0
	ds_add_u64 v2, v[2:3]
	s_trap 2
.LBB6_833:                              ;   in Loop: Header=BB6_800 Depth=3
	s_or_b32 exec_lo, exec_lo, s16
	s_trap 2
	ds_load_b64 v[8:9], v2
	s_wait_dscnt 0x0
	v_add_nc_u64_e32 v[36:37], v[36:37], v[48:49]
	s_mov_b32 s16, exec_lo
	s_delay_alu instid0(VALU_DEP_1)
	v_cmpx_lt_u64_e64 v[8:9], v[36:37]
	s_cbranch_execz .LBB6_842
; %bb.834:                              ;   in Loop: Header=BB6_800 Depth=3
	s_mov_b32 s17, 0
	s_mov_b32 s75, 0
                                        ; implicit-def: $sgpr73
                                        ; implicit-def: $sgpr74
	s_branch .LBB6_836
.LBB6_835:                              ;   in Loop: Header=BB6_836 Depth=4
	s_or_b32 exec_lo, exec_lo, s77
	s_delay_alu instid0(SALU_CYCLE_1) | instskip(NEXT) | instid1(SALU_CYCLE_1)
	s_and_b32 s76, exec_lo, s78
	s_or_b32 s17, s76, s17
	s_and_not1_b32 s73, s73, exec_lo
	s_and_b32 s76, s74, exec_lo
	s_delay_alu instid0(SALU_CYCLE_1)
	s_or_b32 s73, s73, s76
	s_and_not1_b32 exec_lo, exec_lo, s17
	s_cbranch_execz .LBB6_840
.LBB6_836:                              ;   Parent Loop BB6_47 Depth=1
                                        ;     Parent Loop BB6_797 Depth=2
                                        ;       Parent Loop BB6_800 Depth=3
                                        ; =>      This Inner Loop Header: Depth=4
	s_add_co_i32 s75, s75, 1
	s_delay_alu instid0(SALU_CYCLE_1) | instskip(SKIP_1) | instid1(SALU_CYCLE_1)
	s_cmp_lg_u32 s75, 0x2710
	s_cselect_b32 s76, -1, 0
	s_and_b32 vcc_lo, exec_lo, s76
	s_cbranch_vccz .LBB6_838
; %bb.837:                              ;   in Loop: Header=BB6_836 Depth=4
	s_mov_b32 s78, -1
	s_or_b32 s74, s74, exec_lo
	s_and_saveexec_b32 s77, s76
	s_cbranch_execz .LBB6_835
	s_branch .LBB6_839
.LBB6_838:                              ;   in Loop: Header=BB6_836 Depth=4
	s_trap 2
	ds_load_b64 v[8:9], v2
	s_and_not1_b32 s76, s76, exec_lo
	s_mov_b32 s75, 0
	s_wait_loadcnt_dscnt 0x0
	flat_load_b32 v2, v[8:9] scope:SCOPE_SYS
	s_wait_loadcnt_dscnt 0x0
	global_inv scope:SCOPE_SYS
	v_cmp_eq_u32_e32 vcc_lo, 0, v2
	s_and_b32 s77, vcc_lo, exec_lo
	s_delay_alu instid0(SALU_CYCLE_1)
	s_or_b32 s76, s76, s77
	s_mov_b32 s78, -1
	s_or_b32 s74, s74, exec_lo
	s_and_saveexec_b32 s77, s76
	s_cbranch_execz .LBB6_835
.LBB6_839:                              ;   in Loop: Header=BB6_836 Depth=4
	s_sleep 1
	s_trap 2
	ds_load_b64 v[8:9], v2
	s_wait_dscnt 0x0
	s_and_not1_b32 s74, s74, exec_lo
	v_cmp_ge_u64_e32 vcc_lo, v[8:9], v[36:37]
	s_or_not1_b32 s78, vcc_lo, exec_lo
	s_branch .LBB6_835
.LBB6_840:                              ;   in Loop: Header=BB6_800 Depth=3
	s_or_b32 exec_lo, exec_lo, s17
	s_and_saveexec_b32 s17, s73
	s_delay_alu instid0(SALU_CYCLE_1)
	s_xor_b32 s17, exec_lo, s17
	s_cbranch_execz .LBB6_842
; %bb.841:                              ;   in Loop: Header=BB6_800 Depth=3
	ds_store_b32 v2, v121
	s_trap 2
.LBB6_842:                              ;   in Loop: Header=BB6_800 Depth=3
	s_or_b32 exec_lo, exec_lo, s16
	;;#ASMSTART
	s_wakeup
	;;#ASMEND
.LBB6_843:                              ;   in Loop: Header=BB6_800 Depth=3
	s_or_b32 exec_lo, exec_lo, s15
.LBB6_844:                              ;   in Loop: Header=BB6_800 Depth=3
	s_and_not1_saveexec_b32 s14, s14
	s_cbranch_execz .LBB6_846
; %bb.845:                              ;   in Loop: Header=BB6_800 Depth=3
	global_wb scope:SCOPE_DEV
	s_wait_storecnt 0x0
	s_wait_loadcnt_dscnt 0x0
	global_inv scope:SCOPE_DEV
	s_barrier_signal -1
	s_barrier_wait -1
.LBB6_846:                              ;   in Loop: Header=BB6_800 Depth=3
	s_or_b32 exec_lo, exec_lo, s14
.LBB6_847:                              ;   in Loop: Header=BB6_800 Depth=3
	s_delay_alu instid0(SALU_CYCLE_1) | instskip(SKIP_4) | instid1(VALU_DEP_1)
	s_or_b32 exec_lo, exec_lo, s13
	s_trap 2
	ds_load_b32 v8, v2
	v_and_b32_e32 v2, 0x4000, v30
	s_xor_b32 s13, s1, -1
	v_cmp_ne_u32_e32 vcc_lo, 0, v2
	s_and_b32 s14, s13, vcc_lo
	s_delay_alu instid0(SALU_CYCLE_1)
	s_and_saveexec_b32 s13, s14
	s_cbranch_execz .LBB6_866
; %bb.848:                              ;   in Loop: Header=BB6_800 Depth=3
	s_and_saveexec_b32 s14, s3
	s_delay_alu instid0(SALU_CYCLE_1)
	s_xor_b32 s14, exec_lo, s14
	s_cbranch_execz .LBB6_863
; %bb.849:                              ;   in Loop: Header=BB6_800 Depth=3
	s_and_saveexec_b32 s15, s6
	s_cbranch_execz .LBB6_862
; %bb.850:                              ;   in Loop: Header=BB6_800 Depth=3
	s_mov_b32 s17, exec_lo
	s_mov_b32 s16, exec_lo
	v_mbcnt_lo_u32_b32 v2, s17, 0
	global_wb scope:SCOPE_DEV
	s_wait_storecnt 0x0
	s_wait_loadcnt_dscnt 0x0
	global_inv scope:SCOPE_DEV
	v_cmpx_eq_u32_e32 0, v2
	s_cbranch_execz .LBB6_852
; %bb.851:                              ;   in Loop: Header=BB6_800 Depth=3
	s_bcnt1_i32_b32 s17, s17
	s_delay_alu instid0(SALU_CYCLE_1)
	v_mov_b32_e32 v2, s17
	s_wait_loadcnt 0x0
	ds_add_u64 v2, v[2:3]
	s_trap 2
.LBB6_852:                              ;   in Loop: Header=BB6_800 Depth=3
	s_or_b32 exec_lo, exec_lo, s16
	s_trap 2
	ds_load_b64 v[10:11], v2
	s_wait_dscnt 0x0
	v_add_nc_u64_e32 v[36:37], v[36:37], v[48:49]
	s_mov_b32 s16, exec_lo
	s_delay_alu instid0(VALU_DEP_1)
	v_cmpx_lt_u64_e64 v[10:11], v[36:37]
	s_cbranch_execz .LBB6_861
; %bb.853:                              ;   in Loop: Header=BB6_800 Depth=3
	s_mov_b32 s17, 0
	s_mov_b32 s75, 0
                                        ; implicit-def: $sgpr73
                                        ; implicit-def: $sgpr74
	s_branch .LBB6_855
.LBB6_854:                              ;   in Loop: Header=BB6_855 Depth=4
	s_or_b32 exec_lo, exec_lo, s77
	s_delay_alu instid0(SALU_CYCLE_1) | instskip(NEXT) | instid1(SALU_CYCLE_1)
	s_and_b32 s76, exec_lo, s78
	s_or_b32 s17, s76, s17
	s_and_not1_b32 s73, s73, exec_lo
	s_and_b32 s76, s74, exec_lo
	s_delay_alu instid0(SALU_CYCLE_1)
	s_or_b32 s73, s73, s76
	s_and_not1_b32 exec_lo, exec_lo, s17
	s_cbranch_execz .LBB6_859
.LBB6_855:                              ;   Parent Loop BB6_47 Depth=1
                                        ;     Parent Loop BB6_797 Depth=2
                                        ;       Parent Loop BB6_800 Depth=3
                                        ; =>      This Inner Loop Header: Depth=4
	s_add_co_i32 s75, s75, 1
	s_delay_alu instid0(SALU_CYCLE_1) | instskip(SKIP_1) | instid1(SALU_CYCLE_1)
	s_cmp_lg_u32 s75, 0x2710
	s_cselect_b32 s76, -1, 0
	s_and_b32 vcc_lo, exec_lo, s76
	s_cbranch_vccz .LBB6_857
; %bb.856:                              ;   in Loop: Header=BB6_855 Depth=4
	s_mov_b32 s78, -1
	s_or_b32 s74, s74, exec_lo
	s_and_saveexec_b32 s77, s76
	s_cbranch_execz .LBB6_854
	s_branch .LBB6_858
.LBB6_857:                              ;   in Loop: Header=BB6_855 Depth=4
	s_trap 2
	ds_load_b64 v[10:11], v2
	s_and_not1_b32 s76, s76, exec_lo
	s_mov_b32 s75, 0
	s_wait_loadcnt_dscnt 0x0
	flat_load_b32 v2, v[10:11] scope:SCOPE_SYS
	s_wait_loadcnt_dscnt 0x0
	global_inv scope:SCOPE_SYS
	v_cmp_eq_u32_e32 vcc_lo, 0, v2
	s_and_b32 s77, vcc_lo, exec_lo
	s_delay_alu instid0(SALU_CYCLE_1)
	s_or_b32 s76, s76, s77
	s_mov_b32 s78, -1
	s_or_b32 s74, s74, exec_lo
	s_and_saveexec_b32 s77, s76
	s_cbranch_execz .LBB6_854
.LBB6_858:                              ;   in Loop: Header=BB6_855 Depth=4
	s_sleep 1
	s_trap 2
	ds_load_b64 v[10:11], v2
	s_wait_dscnt 0x0
	s_and_not1_b32 s74, s74, exec_lo
	v_cmp_ge_u64_e32 vcc_lo, v[10:11], v[36:37]
	s_or_not1_b32 s78, vcc_lo, exec_lo
	s_branch .LBB6_854
.LBB6_859:                              ;   in Loop: Header=BB6_800 Depth=3
	s_or_b32 exec_lo, exec_lo, s17
	s_and_saveexec_b32 s17, s73
	s_delay_alu instid0(SALU_CYCLE_1)
	s_xor_b32 s17, exec_lo, s17
	s_cbranch_execz .LBB6_861
; %bb.860:                              ;   in Loop: Header=BB6_800 Depth=3
	ds_store_b32 v2, v121
	s_trap 2
.LBB6_861:                              ;   in Loop: Header=BB6_800 Depth=3
	s_or_b32 exec_lo, exec_lo, s16
	;;#ASMSTART
	s_wakeup
	;;#ASMEND
.LBB6_862:                              ;   in Loop: Header=BB6_800 Depth=3
	s_or_b32 exec_lo, exec_lo, s15
.LBB6_863:                              ;   in Loop: Header=BB6_800 Depth=3
	s_and_not1_saveexec_b32 s14, s14
	s_cbranch_execz .LBB6_865
; %bb.864:                              ;   in Loop: Header=BB6_800 Depth=3
	global_wb scope:SCOPE_DEV
	s_wait_storecnt 0x0
	s_wait_loadcnt_dscnt 0x0
	global_inv scope:SCOPE_DEV
	s_barrier_signal -1
	s_barrier_wait -1
.LBB6_865:                              ;   in Loop: Header=BB6_800 Depth=3
	s_or_b32 exec_lo, exec_lo, s14
.LBB6_866:                              ;   in Loop: Header=BB6_800 Depth=3
	s_delay_alu instid0(SALU_CYCLE_1)
	s_or_b32 exec_lo, exec_lo, s13
	s_trap 2
	ds_load_b64 v[18:19], v2
	s_wait_dscnt 0x0
	v_cmp_eq_u64_e32 vcc_lo, 0, v[18:19]
	s_cbranch_vccnz .LBB6_875
; %bb.867:                              ;   in Loop: Header=BB6_800 Depth=3
	s_trap 2
	ds_load_b64 v[118:119], v2
	s_wait_dscnt 0x0
	v_cmp_eq_u64_e32 vcc_lo, 0, v[118:119]
	s_cbranch_vccnz .LBB6_875
; %bb.868:                              ;   in Loop: Header=BB6_800 Depth=3
	s_trap 2
	ds_load_b64 v[40:41], v8
	v_cmp_eq_u32_e32 vcc_lo, 0, v8
	s_mov_b32 s13, -1
	v_cndmask_b32_e32 v2, 0, v12, vcc_lo
	s_delay_alu instid0(VALU_DEP_1)
	v_lshlrev_b32_e32 v13, 3, v2
	s_wait_dscnt 0x0
	v_cmp_ne_u64_e32 vcc_lo, 0, v[40:41]
	s_cbranch_vccz .LBB6_904
; %bb.869:                              ;   in Loop: Header=BB6_800 Depth=3
	s_and_saveexec_b32 s14, s10
	s_cbranch_execz .LBB6_871
; %bb.870:                              ;   in Loop: Header=BB6_800 Depth=3
	ds_load_b32 v8, v0 offset:720
	s_wait_dscnt 0x0
	v_and_b32_e32 v8, 15, v8
	s_delay_alu instid0(VALU_DEP_1)
	v_cmp_eq_u32_e32 vcc_lo, 0, v8
	s_or_not1_b32 s13, vcc_lo, exec_lo
.LBB6_871:                              ;   in Loop: Header=BB6_800 Depth=3
	s_or_b32 exec_lo, exec_lo, s14
	s_and_saveexec_b32 s14, s11
	s_cbranch_execz .LBB6_873
; %bb.872:                              ;   in Loop: Header=BB6_800 Depth=3
	ds_load_b32 v8, v0 offset:784
	s_wait_dscnt 0x0
	v_and_b32_e32 v8, 15, v8
	s_delay_alu instid0(VALU_DEP_1) | instskip(SKIP_3) | instid1(SALU_CYCLE_1)
	v_cmp_eq_u32_e32 vcc_lo, 0, v8
	s_and_b32 s15, s13, vcc_lo
	s_and_not1_b32 s13, s13, exec_lo
	s_and_b32 s15, s15, exec_lo
	s_or_b32 s13, s13, s15
.LBB6_873:                              ;   in Loop: Header=BB6_800 Depth=3
	s_or_b32 exec_lo, exec_lo, s14
	s_xor_b32 s13, s13, -1
	v_dual_mov_b32 v23, 0 :: v_dual_mov_b32 v44, v13
	v_cndmask_b32_e64 v8, 0, 1, s13
	v_mov_b32_e32 v45, v0
	s_mov_b32 s13, -1
	s_delay_alu instid0(VALU_DEP_2)
	v_cmp_ne_u32_e32 vcc_lo, 0, v8
	s_cbranch_vccz .LBB6_880
; %bb.874:                              ;   in Loop: Header=BB6_800 Depth=3
	s_and_saveexec_b32 s15, s13
	s_cbranch_execnz .LBB6_893
	s_branch .LBB6_903
.LBB6_875:                              ;   in Loop: Header=BB6_800 Depth=3
	s_mov_b32 s13, 0
	s_and_saveexec_b32 s14, s2
	s_cbranch_execnz .LBB6_932
.LBB6_876:                              ;   in Loop: Header=BB6_800 Depth=3
	s_or_b32 exec_lo, exec_lo, s14
                                        ; implicit-def: $vgpr2
	s_and_saveexec_b32 s14, s12
	s_delay_alu instid0(SALU_CYCLE_1)
	s_xor_b32 s14, exec_lo, s14
	s_cbranch_execz .LBB6_950
.LBB6_877:                              ;   in Loop: Header=BB6_800 Depth=3
	v_and_b32_e32 v2, 16, v30
	s_delay_alu instid0(VALU_DEP_1) | instskip(SKIP_2) | instid1(SALU_CYCLE_1)
	v_cmp_ne_u32_e32 vcc_lo, 0, v2
	v_and_b32_e32 v2, 16, v30
	s_and_b32 s15, vcc_lo, s13
	s_and_saveexec_b32 s13, s15
	s_cbranch_execz .LBB6_879
; %bb.878:                              ;   in Loop: Header=BB6_800 Depth=3
	v_mov_b32_e32 v2, 1
	global_wb scope:SCOPE_SYS
	s_wait_storecnt 0x0
	s_wait_loadcnt_dscnt 0x0
	global_inv scope:SCOPE_SYS
.LBB6_879:                              ;   in Loop: Header=BB6_800 Depth=3
	s_or_b32 exec_lo, exec_lo, s13
	s_and_not1_saveexec_b32 s13, s14
	s_cbranch_execz .LBB6_969
	s_branch .LBB6_951
.LBB6_880:                              ;   in Loop: Header=BB6_800 Depth=3
	v_ashrrev_i32_e32 v8, 31, v13
	s_mov_b32 s13, exec_lo
	s_delay_alu instid0(VALU_DEP_1) | instskip(NEXT) | instid1(VALU_DEP_1)
	v_lshrrev_b32_e32 v8, 21, v8
	v_add_nc_u32_e32 v8, v13, v8
	s_delay_alu instid0(VALU_DEP_1) | instskip(NEXT) | instid1(VALU_DEP_1)
	v_ashrrev_i32_e32 v15, 11, v8
	v_sub_nc_u32_e32 v46, v15, v120
	s_delay_alu instid0(VALU_DEP_1)
	v_cmpx_lt_i32_e32 0, v46
	s_cbranch_execz .LBB6_884
; %bb.881:                              ;   in Loop: Header=BB6_800 Depth=3
	v_add_nc_u64_e32 v[8:9], v[18:19], v[80:81]
	v_add_nc_u64_e32 v[10:11], v[118:119], v[80:81]
	;; [unrolled: 1-line block ×3, first 2 shown]
	s_mov_b32 s14, 0
.LBB6_882:                              ;   Parent Loop BB6_47 Depth=1
                                        ;     Parent Loop BB6_797 Depth=2
                                        ;       Parent Loop BB6_800 Depth=3
                                        ; =>      This Inner Loop Header: Depth=4
	s_clause 0x3
	global_load_b128 v[52:55], v[8:9], off th:TH_LOAD_NT
	global_load_b128 v[56:59], v[8:9], off offset:512 th:TH_LOAD_NT
	global_load_b128 v[60:63], v[8:9], off offset:1024 th:TH_LOAD_NT
	;; [unrolled: 1-line block ×3, first 2 shown]
	v_sub_nc_u32_e32 v46, v46, v48
	s_wait_xcnt 0x0
	v_add_nc_u64_e32 v[8:9], v[8:9], v[82:83]
	s_wait_loadcnt 0x3
	global_store_b128 v[10:11], v[52:55], off th:TH_STORE_NT
	s_wait_loadcnt 0x2
	global_store_b128 v[10:11], v[56:59], off offset:512 th:TH_STORE_NT
	s_wait_loadcnt 0x1
	global_store_b128 v[10:11], v[60:63], off offset:1024 th:TH_STORE_NT
	;; [unrolled: 2-line block ×3, first 2 shown]
	s_clause 0x3
	global_store_b128 v[42:43], v[52:55], off th:TH_STORE_NT
	global_store_b128 v[42:43], v[56:59], off offset:512 th:TH_STORE_NT
	global_store_b128 v[42:43], v[60:63], off offset:1024 th:TH_STORE_NT
	;; [unrolled: 1-line block ×3, first 2 shown]
	v_cmp_gt_i32_e32 vcc_lo, 1, v46
	s_wait_xcnt 0x4
	v_add_nc_u64_e32 v[10:11], v[10:11], v[82:83]
	s_wait_xcnt 0x0
	v_add_nc_u64_e32 v[42:43], v[42:43], v[82:83]
	s_or_b32 s14, vcc_lo, s14
	s_delay_alu instid0(SALU_CYCLE_1)
	s_and_not1_b32 exec_lo, exec_lo, s14
	s_cbranch_execnz .LBB6_882
; %bb.883:                              ;   in Loop: Header=BB6_800 Depth=3
	s_or_b32 exec_lo, exec_lo, s14
.LBB6_884:                              ;   in Loop: Header=BB6_800 Depth=3
	s_delay_alu instid0(SALU_CYCLE_1) | instskip(SKIP_3) | instid1(VALU_DEP_1)
	s_or_b32 exec_lo, exec_lo, s13
	v_dual_lshlrev_b32 v15, 11, v15 :: v_dual_mov_b32 v23, 0
	s_mov_b32 s13, 0
	s_mov_b32 s73, exec_lo
                                        ; implicit-def: $vgpr44
                                        ; implicit-def: $vgpr45
	v_cmpx_ne_u32_e64 v13, v15
	s_cbranch_execz .LBB6_892
; %bb.885:                              ;   in Loop: Header=BB6_800 Depth=3
	v_dual_lshlrev_b32 v8, 5, v46 :: v_dual_sub_nc_u32 v10, v13, v15
	s_mov_b32 s74, exec_lo
	s_delay_alu instid0(VALU_DEP_1) | instskip(NEXT) | instid1(VALU_DEP_1)
	v_dual_sub_nc_u32 v8, v20, v8 :: v_dual_ashrrev_i32 v11, 31, v10
	v_dual_ashrrev_i32 v9, 31, v8 :: v_dual_lshrrev_b32 v11, 23, v11
	s_delay_alu instid0(VALU_DEP_1) | instskip(NEXT) | instid1(VALU_DEP_1)
	v_lshrrev_b32_e32 v9, 27, v9
	v_add_nc_u32_e32 v9, v8, v9
	s_delay_alu instid0(VALU_DEP_1) | instskip(NEXT) | instid1(VALU_DEP_1)
	v_and_b32_e32 v21, 0xffffffe0, v9
	v_dual_add_nc_u32 v11, v10, v11 :: v_dual_sub_nc_u32 v56, v8, v21
	s_delay_alu instid0(VALU_DEP_1) | instskip(SKIP_1) | instid1(VALU_DEP_3)
	v_and_b32_e32 v23, 0xfffffe00, v11
	v_dual_ashrrev_i32 v9, 5, v9 :: v_dual_ashrrev_i32 v11, 9, v11
	v_lshlrev_b32_e32 v8, 4, v56
	s_delay_alu instid0(VALU_DEP_1) | instskip(NEXT) | instid1(VALU_DEP_1)
	v_lshl_add_u32 v8, v9, 9, v8
	v_dual_sub_nc_u32 v57, v10, v23 :: v_dual_sub_nc_u32 v59, v10, v8
	s_delay_alu instid0(VALU_DEP_1) | instskip(NEXT) | instid1(VALU_DEP_1)
	v_cmp_lt_i32_e64 s13, 15, v57
	v_add_co_ci_u32_e64 v11, null, 0, v11, s13
	s_delay_alu instid0(VALU_DEP_1) | instskip(NEXT) | instid1(VALU_DEP_4)
	v_sub_nc_u32_e32 v58, v11, v9
	v_cmpx_lt_i32_e32 15, v59
	s_cbranch_execz .LBB6_891
; %bb.886:                              ;   in Loop: Header=BB6_800 Depth=3
	v_add_nc_u32_e32 v8, v8, v15
	s_mov_b32 s75, 0
	s_delay_alu instid0(VALU_DEP_1) | instskip(NEXT) | instid1(VALU_DEP_1)
	v_ashrrev_i32_e32 v9, 31, v8
	v_add_nc_u64_e32 v[42:43], v[8:9], v[18:19]
	v_add_nc_u64_e32 v[44:45], v[8:9], v[118:119]
	;; [unrolled: 1-line block ×3, first 2 shown]
.LBB6_887:                              ;   Parent Loop BB6_47 Depth=1
                                        ;     Parent Loop BB6_797 Depth=2
                                        ;       Parent Loop BB6_800 Depth=3
                                        ; =>      This Loop Header: Depth=4
                                        ;           Child Loop BB6_888 Depth 5
	global_load_b128 v[8:11], v[42:43], off th:TH_LOAD_NT
	s_mov_b64 s[16:17], 0
	s_mov_b32 s76, -1
.LBB6_888:                              ;   Parent Loop BB6_47 Depth=1
                                        ;     Parent Loop BB6_797 Depth=2
                                        ;       Parent Loop BB6_800 Depth=3
                                        ;         Parent Loop BB6_887 Depth=4
                                        ; =>        This Inner Loop Header: Depth=5
	s_cmp_eq_u32 s16, 1
	s_cselect_b32 vcc_lo, -1, 0
	s_cmp_eq_u32 s16, 0
	s_wait_xcnt 0x0
	v_dual_cndmask_b32 v53, v45, v47 :: v_dual_cndmask_b32 v52, v44, v46
	s_cselect_b32 s14, -1, 0
	s_and_b32 s15, exec_lo, s76
	s_mov_b64 s[16:17], 1
	s_mov_b32 s76, 0
	v_add_nc_u64_e32 v[54:55], 0x200, v[52:53]
	s_wait_loadcnt 0x0
	global_store_b128 v[52:53], v[8:11], off th:TH_STORE_NT
	v_dual_cndmask_b32 v47, v47, v55 :: v_dual_cndmask_b32 v46, v46, v54
	v_dual_cndmask_b32 v45, v45, v55, s14 :: v_dual_cndmask_b32 v44, v44, v54, s14
	s_mov_b32 vcc_lo, s15
	s_cbranch_vccnz .LBB6_888
; %bb.889:                              ;   in Loop: Header=BB6_887 Depth=4
	v_dual_sub_nc_u32 v59, v59, v66 :: v_dual_sub_nc_u32 v58, v58, v48
	s_delay_alu instid0(VALU_DEP_2)
	v_add_nc_u64_e32 v[44:45], v[44:45], v[86:87]
	v_add_nc_u64_e32 v[46:47], v[46:47], v[86:87]
	s_wait_xcnt 0x1
	v_add_nc_u64_e32 v[42:43], v[98:99], v[42:43]
	v_cmp_gt_i32_e32 vcc_lo, 16, v59
	s_or_b32 s75, vcc_lo, s75
	s_wait_xcnt 0x0
	s_and_not1_b32 exec_lo, exec_lo, s75
	s_cbranch_execnz .LBB6_887
; %bb.890:                              ;   in Loop: Header=BB6_800 Depth=3
	s_or_b32 exec_lo, exec_lo, s75
.LBB6_891:                              ;   in Loop: Header=BB6_800 Depth=3
	s_delay_alu instid0(SALU_CYCLE_1) | instskip(NEXT) | instid1(VALU_DEP_2)
	s_or_b32 exec_lo, exec_lo, s74
	v_cmp_lt_i32_e32 vcc_lo, 0, v58
	v_dual_cndmask_b32 v10, 0, v48, vcc_lo :: v_dual_bitop2_b32 v8, 8, v13 bitop3:0x40
	s_delay_alu instid0(VALU_DEP_1) | instskip(NEXT) | instid1(VALU_DEP_1)
	v_dual_sub_nc_u32 v9, v57, v8 :: v_dual_cndmask_b32 v44, v57, v8, s13
	v_dual_cndmask_b32 v8, 0, v9, s13 :: v_dual_sub_nc_u32 v9, v10, v58
	s_delay_alu instid0(VALU_DEP_2) | instskip(NEXT) | instid1(VALU_DEP_2)
	v_cmp_ne_u32_e32 vcc_lo, 0, v44
	v_add3_u32 v23, v23, v15, v8
	s_delay_alu instid0(VALU_DEP_3)
	v_lshl_add_u32 v45, v9, 5, v56
	s_and_b32 s13, vcc_lo, exec_lo
.LBB6_892:                              ;   in Loop: Header=BB6_800 Depth=3
	s_or_b32 exec_lo, exec_lo, s73
	s_and_saveexec_b32 s15, s13
	s_cbranch_execz .LBB6_903
.LBB6_893:                              ;   in Loop: Header=BB6_800 Depth=3
	v_dual_ashrrev_i32 v8, 31, v45 :: v_dual_ashrrev_i32 v9, 31, v44
	s_mov_b32 s13, exec_lo
	s_delay_alu instid0(VALU_DEP_1) | instskip(NEXT) | instid1(VALU_DEP_1)
	v_dual_lshrrev_b32 v8, 27, v8 :: v_dual_lshrrev_b32 v9, 22, v9
	v_dual_add_nc_u32 v8, v45, v8 :: v_dual_add_nc_u32 v9, v44, v9
	s_delay_alu instid0(VALU_DEP_1) | instskip(NEXT) | instid1(VALU_DEP_1)
	v_dual_ashrrev_i32 v15, 5, v8 :: v_dual_ashrrev_i32 v47, 10, v9
	v_sub_nc_u32_e32 v46, v47, v15
	s_delay_alu instid0(VALU_DEP_1)
	v_cmpx_lt_i32_e32 0, v46
	s_cbranch_execz .LBB6_897
; %bb.894:                              ;   in Loop: Header=BB6_800 Depth=3
	v_and_b32_e32 v8, 0x1fffffe0, v8
	s_mov_b32 s14, 0
	s_delay_alu instid0(VALU_DEP_1) | instskip(NEXT) | instid1(VALU_DEP_1)
	v_dual_lshlrev_b32 v9, 10, v15 :: v_dual_sub_nc_u32 v8, v45, v8
	v_lshlrev_b32_e32 v8, 3, v8
	s_delay_alu instid0(VALU_DEP_1) | instskip(NEXT) | instid1(VALU_DEP_1)
	v_add3_u32 v52, v8, v23, v9
	v_ashrrev_i32_e32 v53, 31, v52
	s_delay_alu instid0(VALU_DEP_1)
	v_add_nc_u64_e32 v[8:9], v[52:53], v[18:19]
	v_add_nc_u64_e32 v[10:11], v[52:53], v[118:119]
	;; [unrolled: 1-line block ×3, first 2 shown]
.LBB6_895:                              ;   Parent Loop BB6_47 Depth=1
                                        ;     Parent Loop BB6_797 Depth=2
                                        ;       Parent Loop BB6_800 Depth=3
                                        ; =>      This Inner Loop Header: Depth=4
	s_clause 0x3
	flat_load_b64 v[52:53], v[8:9] th:TH_LOAD_NT
	flat_load_b64 v[54:55], v[8:9] offset:256 th:TH_LOAD_NT
	flat_load_b64 v[56:57], v[8:9] offset:512 th:TH_LOAD_NT
	;; [unrolled: 1-line block ×3, first 2 shown]
	v_sub_nc_u32_e32 v46, v46, v48
	s_wait_xcnt 0x0
	v_add_nc_u64_e32 v[8:9], v[8:9], v[68:69]
	s_wait_loadcnt_dscnt 0x303
	flat_store_b64 v[10:11], v[52:53] th:TH_STORE_NT
	s_wait_loadcnt_dscnt 0x203
	flat_store_b64 v[10:11], v[54:55] offset:256 th:TH_STORE_NT
	s_wait_loadcnt_dscnt 0x103
	flat_store_b64 v[10:11], v[56:57] offset:512 th:TH_STORE_NT
	;; [unrolled: 2-line block ×3, first 2 shown]
	s_clause 0x3
	flat_store_b64 v[42:43], v[52:53] th:TH_STORE_NT
	flat_store_b64 v[42:43], v[54:55] offset:256 th:TH_STORE_NT
	flat_store_b64 v[42:43], v[56:57] offset:512 th:TH_STORE_NT
	;; [unrolled: 1-line block ×3, first 2 shown]
	v_cmp_gt_i32_e32 vcc_lo, 1, v46
	s_wait_xcnt 0x4
	v_add_nc_u64_e32 v[10:11], v[10:11], v[68:69]
	s_wait_xcnt 0x0
	v_add_nc_u64_e32 v[42:43], v[42:43], v[68:69]
	s_or_b32 s14, vcc_lo, s14
	s_delay_alu instid0(SALU_CYCLE_1)
	s_and_not1_b32 exec_lo, exec_lo, s14
	s_cbranch_execnz .LBB6_895
; %bb.896:                              ;   in Loop: Header=BB6_800 Depth=3
	s_or_b32 exec_lo, exec_lo, s14
.LBB6_897:                              ;   in Loop: Header=BB6_800 Depth=3
	s_delay_alu instid0(SALU_CYCLE_1) | instskip(SKIP_1) | instid1(VALU_DEP_1)
	s_or_b32 exec_lo, exec_lo, s13
	v_lshlrev_b32_e32 v8, 10, v47
	v_cmp_ne_u32_e32 vcc_lo, v44, v8
	s_and_b32 exec_lo, exec_lo, vcc_lo
	s_cbranch_execz .LBB6_903
; %bb.898:                              ;   in Loop: Header=BB6_800 Depth=3
	v_dual_lshlrev_b32 v9, 5, v15 :: v_dual_lshlrev_b32 v10, 5, v46
	s_delay_alu instid0(VALU_DEP_1) | instskip(NEXT) | instid1(VALU_DEP_1)
	v_sub_nc_u32_e32 v9, v45, v9
	v_sub_nc_u32_e32 v9, v9, v10
	s_delay_alu instid0(VALU_DEP_1) | instskip(NEXT) | instid1(VALU_DEP_1)
	v_ashrrev_i32_e32 v10, 31, v9
	v_lshrrev_b32_e32 v10, 27, v10
	s_delay_alu instid0(VALU_DEP_1) | instskip(NEXT) | instid1(VALU_DEP_1)
	v_add_nc_u32_e32 v10, v9, v10
	v_and_b32_e32 v11, 0x1fffffe0, v10
	s_delay_alu instid0(VALU_DEP_1) | instskip(NEXT) | instid1(VALU_DEP_1)
	v_dual_lshlrev_b32 v10, 3, v10 :: v_dual_sub_nc_u32 v9, v9, v11
	v_and_b32_e32 v10, 0xffffff00, v10
	s_delay_alu instid0(VALU_DEP_2) | instskip(NEXT) | instid1(VALU_DEP_1)
	v_lshlrev_b32_e32 v9, 3, v9
	v_add3_u32 v8, v10, v9, v8
	s_delay_alu instid0(VALU_DEP_1) | instskip(NEXT) | instid1(VALU_DEP_1)
	v_sub_nc_u32_e32 v15, v44, v8
	v_cmp_lt_i32_e32 vcc_lo, 7, v15
	s_and_b32 exec_lo, exec_lo, vcc_lo
	s_cbranch_execz .LBB6_903
; %bb.899:                              ;   in Loop: Header=BB6_800 Depth=3
	v_add_nc_u32_e32 v52, v8, v23
	s_mov_b32 s73, 0
	s_delay_alu instid0(VALU_DEP_1) | instskip(NEXT) | instid1(VALU_DEP_1)
	v_ashrrev_i32_e32 v53, 31, v52
	v_add_nc_u64_e32 v[8:9], v[52:53], v[18:19]
	v_add_nc_u64_e32 v[10:11], v[52:53], v[118:119]
	;; [unrolled: 1-line block ×3, first 2 shown]
.LBB6_900:                              ;   Parent Loop BB6_47 Depth=1
                                        ;     Parent Loop BB6_797 Depth=2
                                        ;       Parent Loop BB6_800 Depth=3
                                        ; =>      This Loop Header: Depth=4
                                        ;           Child Loop BB6_901 Depth 5
	flat_load_b64 v[42:43], v[8:9] th:TH_LOAD_NT
	s_mov_b64 s[16:17], 0
	s_mov_b32 s74, -1
.LBB6_901:                              ;   Parent Loop BB6_47 Depth=1
                                        ;     Parent Loop BB6_797 Depth=2
                                        ;       Parent Loop BB6_800 Depth=3
                                        ;         Parent Loop BB6_900 Depth=4
                                        ; =>        This Inner Loop Header: Depth=5
	s_cmp_eq_u32 s16, 1
	s_cselect_b32 vcc_lo, -1, 0
	s_cmp_eq_u32 s16, 0
	s_wait_xcnt 0x0
	v_dual_cndmask_b32 v53, v11, v41 :: v_dual_cndmask_b32 v52, v10, v40
	s_cselect_b32 s13, -1, 0
	s_and_b32 s14, exec_lo, s74
	s_mov_b64 s[16:17], 1
	s_mov_b32 s74, 0
	v_add_nc_u64_e32 v[54:55], 0x100, v[52:53]
	s_wait_loadcnt_dscnt 0x0
	flat_store_b64 v[52:53], v[42:43] th:TH_STORE_NT
	v_dual_cndmask_b32 v41, v41, v55 :: v_dual_cndmask_b32 v40, v40, v54
	v_dual_cndmask_b32 v11, v11, v55, s13 :: v_dual_cndmask_b32 v10, v10, v54, s13
	s_mov_b32 vcc_lo, s14
	s_cbranch_vccnz .LBB6_901
; %bb.902:                              ;   in Loop: Header=BB6_900 Depth=4
	v_sub_nc_u32_e32 v15, v15, v70
	s_delay_alu instid0(VALU_DEP_2)
	v_add_nc_u64_e32 v[10:11], v[10:11], v[96:97]
	v_add_nc_u64_e32 v[40:41], v[40:41], v[96:97]
	s_wait_xcnt 0x1
	v_add_nc_u64_e32 v[8:9], v[100:101], v[8:9]
	v_cmp_gt_i32_e32 vcc_lo, 8, v15
	s_or_b32 s73, vcc_lo, s73
	s_wait_xcnt 0x0
	s_and_not1_b32 exec_lo, exec_lo, s73
	s_cbranch_execnz .LBB6_900
.LBB6_903:                              ;   in Loop: Header=BB6_800 Depth=3
	s_or_b32 exec_lo, exec_lo, s15
	s_mov_b32 s13, 0
.LBB6_904:                              ;   in Loop: Header=BB6_800 Depth=3
	s_delay_alu instid0(SALU_CYCLE_1)
	s_and_b32 vcc_lo, exec_lo, s13
	s_cbranch_vccz .LBB6_931
; %bb.905:                              ;   in Loop: Header=BB6_800 Depth=3
	s_mov_b32 s13, -1
	s_and_saveexec_b32 s14, s10
	s_cbranch_execz .LBB6_907
; %bb.906:                              ;   in Loop: Header=BB6_800 Depth=3
	ds_load_b32 v8, v0 offset:720
	s_wait_dscnt 0x0
	v_and_b32_e32 v8, 15, v8
	s_delay_alu instid0(VALU_DEP_1)
	v_cmp_eq_u32_e32 vcc_lo, 0, v8
	s_or_not1_b32 s13, vcc_lo, exec_lo
.LBB6_907:                              ;   in Loop: Header=BB6_800 Depth=3
	s_or_b32 exec_lo, exec_lo, s14
	s_and_saveexec_b32 s14, s7
	s_cbranch_execz .LBB6_909
; %bb.908:                              ;   in Loop: Header=BB6_800 Depth=3
	ds_load_b32 v8, v0 offset:784
	s_wait_dscnt 0x0
	v_and_b32_e32 v8, 15, v8
	s_delay_alu instid0(VALU_DEP_1) | instskip(SKIP_3) | instid1(SALU_CYCLE_1)
	v_cmp_eq_u32_e32 vcc_lo, 0, v8
	s_and_b32 s15, s13, vcc_lo
	s_and_not1_b32 s13, s13, exec_lo
	s_and_b32 s15, s15, exec_lo
	s_or_b32 s13, s13, s15
.LBB6_909:                              ;   in Loop: Header=BB6_800 Depth=3
	s_or_b32 exec_lo, exec_lo, s14
	s_xor_b32 s13, s13, -1
	v_mov_b32_e32 v15, 0
	v_cndmask_b32_e64 v8, 0, 1, s13
	s_mov_b32 s15, -1
	s_delay_alu instid0(VALU_DEP_1)
	v_cmp_ne_u32_e32 vcc_lo, 0, v8
	s_cbranch_vccz .LBB6_911
; %bb.910:                              ;   in Loop: Header=BB6_800 Depth=3
	v_mov_b32_e32 v23, v0
	s_and_saveexec_b32 s13, s15
	s_cbranch_execnz .LBB6_922
	s_branch .LBB6_930
.LBB6_911:                              ;   in Loop: Header=BB6_800 Depth=3
	v_ashrrev_i32_e32 v8, 31, v13
	s_mov_b32 s13, exec_lo
	s_delay_alu instid0(VALU_DEP_1) | instskip(NEXT) | instid1(VALU_DEP_1)
	v_lshrrev_b32_e32 v8, 20, v8
	v_add_nc_u32_e32 v8, v13, v8
	s_delay_alu instid0(VALU_DEP_1) | instskip(NEXT) | instid1(VALU_DEP_1)
	v_ashrrev_i32_e32 v15, 12, v8
	v_sub_nc_u32_e32 v40, v15, v120
	s_delay_alu instid0(VALU_DEP_1)
	v_cmpx_lt_i32_e32 0, v40
	s_cbranch_execz .LBB6_915
; %bb.912:                              ;   in Loop: Header=BB6_800 Depth=3
	v_mov_b64_e32 v[8:9], v[118:119]
	v_mov_b64_e32 v[10:11], v[18:19]
	s_mov_b32 s14, 0
.LBB6_913:                              ;   Parent Loop BB6_47 Depth=1
                                        ;     Parent Loop BB6_797 Depth=2
                                        ;       Parent Loop BB6_800 Depth=3
                                        ; =>      This Inner Loop Header: Depth=4
	s_delay_alu instid0(VALU_DEP_1)
	v_add_nc_u64_e32 v[46:47], v[84:85], v[10:11]
	v_sub_nc_u32_e32 v40, v40, v48
	v_add_nc_u64_e32 v[10:11], v[10:11], v[64:65]
	s_clause 0x7
	global_load_b128 v[52:55], v[46:47], off th:TH_LOAD_NT
	global_load_b128 v[42:45], v[46:47], off offset:512 th:TH_LOAD_NT
	global_load_b128 v[56:59], v[46:47], off offset:1024 th:TH_LOAD_NT
	;; [unrolled: 1-line block ×7, first 2 shown]
	s_wait_xcnt 0x0
	v_add_nc_u64_e32 v[46:47], v[84:85], v[8:9]
	v_add_nc_u64_e32 v[8:9], v[8:9], v[64:65]
	v_cmp_gt_i32_e32 vcc_lo, 1, v40
	s_wait_loadcnt 0x7
	global_store_b128 v[46:47], v[52:55], off th:TH_STORE_NT
	s_wait_loadcnt 0x6
	global_store_b128 v[46:47], v[42:45], off offset:512 th:TH_STORE_NT
	s_wait_loadcnt 0x5
	global_store_b128 v[46:47], v[56:59], off offset:1024 th:TH_STORE_NT
	;; [unrolled: 2-line block ×7, first 2 shown]
	s_or_b32 s14, vcc_lo, s14
	s_wait_xcnt 0x0
	s_and_not1_b32 exec_lo, exec_lo, s14
	s_cbranch_execnz .LBB6_913
; %bb.914:                              ;   in Loop: Header=BB6_800 Depth=3
	s_or_b32 exec_lo, exec_lo, s14
.LBB6_915:                              ;   in Loop: Header=BB6_800 Depth=3
	s_delay_alu instid0(SALU_CYCLE_1) | instskip(SKIP_3) | instid1(VALU_DEP_1)
	s_or_b32 exec_lo, exec_lo, s13
	v_dual_mov_b32 v15, 0 :: v_dual_lshlrev_b32 v10, 12, v15
	s_mov_b32 s15, 0
	s_mov_b32 s14, exec_lo
                                        ; implicit-def: $vgpr23
	v_cmpx_ne_u32_e64 v13, v10
	s_cbranch_execz .LBB6_921
; %bb.916:                              ;   in Loop: Header=BB6_800 Depth=3
	v_dual_lshlrev_b32 v8, 5, v40 :: v_dual_sub_nc_u32 v21, v13, v10
	s_mov_b32 s15, exec_lo
	s_delay_alu instid0(VALU_DEP_1) | instskip(NEXT) | instid1(VALU_DEP_1)
	v_dual_sub_nc_u32 v8, v20, v8 :: v_dual_ashrrev_i32 v11, 31, v21
	v_dual_ashrrev_i32 v9, 31, v8 :: v_dual_lshrrev_b32 v11, 23, v11
	s_delay_alu instid0(VALU_DEP_1) | instskip(NEXT) | instid1(VALU_DEP_1)
	v_lshrrev_b32_e32 v9, 27, v9
	v_dual_add_nc_u32 v9, v8, v9 :: v_dual_add_nc_u32 v52, v21, v11
	s_delay_alu instid0(VALU_DEP_1) | instskip(NEXT) | instid1(VALU_DEP_1)
	v_and_b32_e32 v15, 0xffffffe0, v9
	v_dual_ashrrev_i32 v9, 5, v9 :: v_dual_sub_nc_u32 v11, v8, v15
	s_delay_alu instid0(VALU_DEP_3) | instskip(NEXT) | instid1(VALU_DEP_1)
	v_and_b32_e32 v15, 0xfffffe00, v52
	v_dual_ashrrev_i32 v52, 9, v52 :: v_dual_sub_nc_u32 v23, v21, v15
	s_delay_alu instid0(VALU_DEP_3) | instskip(NEXT) | instid1(VALU_DEP_2)
	v_lshlrev_b32_e32 v8, 4, v11
	v_cmp_lt_i32_e32 vcc_lo, 15, v23
	s_delay_alu instid0(VALU_DEP_2) | instskip(NEXT) | instid1(VALU_DEP_4)
	v_lshl_add_u32 v8, v9, 9, v8
	v_add_co_ci_u32_e64 v52, null, 0, v52, vcc_lo
	s_delay_alu instid0(VALU_DEP_1) | instskip(NEXT) | instid1(VALU_DEP_1)
	v_dual_sub_nc_u32 v41, v21, v8 :: v_dual_sub_nc_u32 v40, v52, v9
	v_cmpx_lt_i32_e32 15, v41
	s_cbranch_execz .LBB6_920
; %bb.917:                              ;   in Loop: Header=BB6_800 Depth=3
	v_add_nc_u32_e32 v8, v8, v10
	s_mov_b32 s16, 0
	s_delay_alu instid0(VALU_DEP_1)
	v_ashrrev_i32_e32 v9, 31, v8
.LBB6_918:                              ;   Parent Loop BB6_47 Depth=1
                                        ;     Parent Loop BB6_797 Depth=2
                                        ;       Parent Loop BB6_800 Depth=3
                                        ; =>      This Inner Loop Header: Depth=4
	s_delay_alu instid0(VALU_DEP_1) | instskip(SKIP_3) | instid1(VALU_DEP_3)
	v_add_nc_u64_e32 v[52:53], v[18:19], v[8:9]
	v_dual_sub_nc_u32 v41, v41, v66 :: v_dual_sub_nc_u32 v40, v40, v48
	v_add_nc_u64_e32 v[42:43], v[118:119], v[8:9]
	v_add_nc_u64_e32 v[8:9], v[8:9], v[66:67]
	v_cmp_gt_i32_e64 s13, 16, v41
	global_load_b128 v[52:55], v[52:53], off th:TH_LOAD_NT
	s_or_b32 s16, s13, s16
	s_wait_loadcnt 0x0
	global_store_b128 v[42:43], v[52:55], off th:TH_STORE_NT
	s_wait_xcnt 0x0
	s_and_not1_b32 exec_lo, exec_lo, s16
	s_cbranch_execnz .LBB6_918
; %bb.919:                              ;   in Loop: Header=BB6_800 Depth=3
	s_or_b32 exec_lo, exec_lo, s16
.LBB6_920:                              ;   in Loop: Header=BB6_800 Depth=3
	s_delay_alu instid0(SALU_CYCLE_1) | instskip(NEXT) | instid1(VALU_DEP_2)
	s_or_b32 exec_lo, exec_lo, s15
	v_cmp_lt_i32_e64 s13, 0, v40
	s_delay_alu instid0(VALU_DEP_1) | instskip(NEXT) | instid1(VALU_DEP_1)
	v_dual_cndmask_b32 v21, 0, v48, s13 :: v_dual_bitop2_b32 v8, 8, v13 bitop3:0x40
	v_dual_sub_nc_u32 v9, v23, v8 :: v_dual_cndmask_b32 v13, v23, v8, vcc_lo
	s_delay_alu instid0(VALU_DEP_1) | instskip(NEXT) | instid1(VALU_DEP_2)
	v_dual_cndmask_b32 v8, 0, v9 :: v_dual_sub_nc_u32 v9, v21, v40
	v_cmp_ne_u32_e32 vcc_lo, 0, v13
	s_delay_alu instid0(VALU_DEP_2) | instskip(NEXT) | instid1(VALU_DEP_3)
	v_add3_u32 v15, v15, v10, v8
	v_lshl_add_u32 v23, v9, 5, v11
	s_and_b32 s15, vcc_lo, exec_lo
.LBB6_921:                              ;   in Loop: Header=BB6_800 Depth=3
	s_or_b32 exec_lo, exec_lo, s14
	s_and_saveexec_b32 s13, s15
	s_cbranch_execz .LBB6_930
.LBB6_922:                              ;   in Loop: Header=BB6_800 Depth=3
	s_delay_alu instid0(VALU_DEP_1) | instskip(SKIP_1) | instid1(VALU_DEP_1)
	v_dual_ashrrev_i32 v8, 31, v23 :: v_dual_ashrrev_i32 v9, 31, v13
	s_mov_b32 s14, exec_lo
	v_dual_lshrrev_b32 v8, 27, v8 :: v_dual_lshrrev_b32 v9, 22, v9
	s_delay_alu instid0(VALU_DEP_1) | instskip(NEXT) | instid1(VALU_DEP_1)
	v_dual_add_nc_u32 v8, v23, v8 :: v_dual_add_nc_u32 v9, v13, v9
	v_dual_ashrrev_i32 v42, 5, v8 :: v_dual_ashrrev_i32 v44, 10, v9
	s_delay_alu instid0(VALU_DEP_1) | instskip(NEXT) | instid1(VALU_DEP_1)
	v_sub_nc_u32_e32 v43, v44, v42
	v_cmpx_lt_i32_e32 0, v43
	s_cbranch_execz .LBB6_926
; %bb.923:                              ;   in Loop: Header=BB6_800 Depth=3
	v_and_b32_e32 v8, 0x1fffffe0, v8
	v_mov_b64_e32 v[10:11], v[118:119]
	v_mov_b64_e32 v[40:41], v[18:19]
	s_mov_b32 s15, 0
	s_delay_alu instid0(VALU_DEP_3) | instskip(NEXT) | instid1(VALU_DEP_1)
	v_dual_lshlrev_b32 v9, 10, v42 :: v_dual_sub_nc_u32 v8, v23, v8
	v_lshlrev_b32_e32 v8, 3, v8
	s_delay_alu instid0(VALU_DEP_1) | instskip(NEXT) | instid1(VALU_DEP_1)
	v_add3_u32 v8, v8, v15, v9
	v_ashrrev_i32_e32 v9, 31, v8
.LBB6_924:                              ;   Parent Loop BB6_47 Depth=1
                                        ;     Parent Loop BB6_797 Depth=2
                                        ;       Parent Loop BB6_800 Depth=3
                                        ; =>      This Inner Loop Header: Depth=4
	s_delay_alu instid0(VALU_DEP_1)
	v_add_nc_u64_e32 v[52:53], v[8:9], v[40:41]
	v_sub_nc_u32_e32 v43, v43, v48
	v_add_nc_u64_e32 v[58:59], v[8:9], v[10:11]
	v_add_nc_u64_e32 v[40:41], v[40:41], v[68:69]
	;; [unrolled: 1-line block ×3, first 2 shown]
	s_clause 0x3
	flat_load_b64 v[54:55], v[52:53] th:TH_LOAD_NT
	flat_load_b64 v[46:47], v[52:53] offset:256 th:TH_LOAD_NT
	flat_load_b64 v[56:57], v[52:53] offset:512 th:TH_LOAD_NT
	;; [unrolled: 1-line block ×3, first 2 shown]
	v_cmp_gt_i32_e32 vcc_lo, 1, v43
	s_wait_loadcnt_dscnt 0x303
	flat_store_b64 v[58:59], v[54:55] th:TH_STORE_NT
	s_wait_loadcnt_dscnt 0x203
	flat_store_b64 v[58:59], v[46:47] offset:256 th:TH_STORE_NT
	s_wait_loadcnt_dscnt 0x103
	flat_store_b64 v[58:59], v[56:57] offset:512 th:TH_STORE_NT
	;; [unrolled: 2-line block ×3, first 2 shown]
	s_or_b32 s15, vcc_lo, s15
	s_wait_xcnt 0x0
	s_and_not1_b32 exec_lo, exec_lo, s15
	s_cbranch_execnz .LBB6_924
; %bb.925:                              ;   in Loop: Header=BB6_800 Depth=3
	s_or_b32 exec_lo, exec_lo, s15
.LBB6_926:                              ;   in Loop: Header=BB6_800 Depth=3
	s_delay_alu instid0(SALU_CYCLE_1) | instskip(SKIP_1) | instid1(VALU_DEP_1)
	s_or_b32 exec_lo, exec_lo, s14
	v_lshlrev_b32_e32 v8, 10, v44
	v_cmp_ne_u32_e32 vcc_lo, v13, v8
	s_and_b32 exec_lo, exec_lo, vcc_lo
	s_cbranch_execz .LBB6_930
; %bb.927:                              ;   in Loop: Header=BB6_800 Depth=3
	v_dual_lshlrev_b32 v9, 5, v42 :: v_dual_lshlrev_b32 v10, 5, v43
	s_delay_alu instid0(VALU_DEP_1) | instskip(NEXT) | instid1(VALU_DEP_1)
	v_sub_nc_u32_e32 v9, v23, v9
	v_sub_nc_u32_e32 v9, v9, v10
	s_delay_alu instid0(VALU_DEP_1) | instskip(NEXT) | instid1(VALU_DEP_1)
	v_ashrrev_i32_e32 v10, 31, v9
	v_lshrrev_b32_e32 v10, 27, v10
	s_delay_alu instid0(VALU_DEP_1) | instskip(NEXT) | instid1(VALU_DEP_1)
	v_add_nc_u32_e32 v10, v9, v10
	v_and_b32_e32 v11, 0x1fffffe0, v10
	s_delay_alu instid0(VALU_DEP_1) | instskip(NEXT) | instid1(VALU_DEP_1)
	v_dual_lshlrev_b32 v10, 3, v10 :: v_dual_sub_nc_u32 v9, v9, v11
	v_and_b32_e32 v10, 0xffffff00, v10
	s_delay_alu instid0(VALU_DEP_2) | instskip(NEXT) | instid1(VALU_DEP_1)
	v_lshlrev_b32_e32 v9, 3, v9
	v_add3_u32 v8, v10, v9, v8
	s_delay_alu instid0(VALU_DEP_1) | instskip(NEXT) | instid1(VALU_DEP_1)
	v_sub_nc_u32_e32 v10, v13, v8
	v_cmp_lt_i32_e32 vcc_lo, 7, v10
	s_and_b32 exec_lo, exec_lo, vcc_lo
	s_cbranch_execz .LBB6_930
; %bb.928:                              ;   in Loop: Header=BB6_800 Depth=3
	v_add_nc_u32_e32 v8, v8, v15
	s_mov_b32 s14, 0
	s_delay_alu instid0(VALU_DEP_1)
	v_ashrrev_i32_e32 v9, 31, v8
.LBB6_929:                              ;   Parent Loop BB6_47 Depth=1
                                        ;     Parent Loop BB6_797 Depth=2
                                        ;       Parent Loop BB6_800 Depth=3
                                        ; =>      This Inner Loop Header: Depth=4
	s_delay_alu instid0(VALU_DEP_1) | instskip(SKIP_3) | instid1(VALU_DEP_3)
	v_add_nc_u64_e32 v[52:53], v[18:19], v[8:9]
	v_sub_nc_u32_e32 v10, v10, v70
	v_add_nc_u64_e32 v[54:55], v[118:119], v[8:9]
	v_add_nc_u64_e32 v[8:9], v[8:9], v[70:71]
	v_cmp_gt_i32_e32 vcc_lo, 8, v10
	flat_load_b64 v[52:53], v[52:53] th:TH_LOAD_NT
	s_or_b32 s14, vcc_lo, s14
	s_wait_loadcnt_dscnt 0x0
	flat_store_b64 v[54:55], v[52:53] th:TH_STORE_NT
	s_wait_xcnt 0x0
	s_and_not1_b32 exec_lo, exec_lo, s14
	s_cbranch_execnz .LBB6_929
.LBB6_930:                              ;   in Loop: Header=BB6_800 Depth=3
	s_or_b32 exec_lo, exec_lo, s13
.LBB6_931:                              ;   in Loop: Header=BB6_800 Depth=3
	v_cmp_lt_i32_e64 s13, 0, v2
	s_and_saveexec_b32 s14, s2
	s_cbranch_execz .LBB6_876
.LBB6_932:                              ;   in Loop: Header=BB6_800 Depth=3
	s_and_saveexec_b32 s15, s3
	s_delay_alu instid0(SALU_CYCLE_1)
	s_xor_b32 s15, exec_lo, s15
	s_cbranch_execz .LBB6_947
; %bb.933:                              ;   in Loop: Header=BB6_800 Depth=3
	s_and_saveexec_b32 s16, s6
	s_cbranch_execz .LBB6_946
; %bb.934:                              ;   in Loop: Header=BB6_800 Depth=3
	s_mov_b32 s73, exec_lo
	s_mov_b32 s17, exec_lo
	v_mbcnt_lo_u32_b32 v2, s73, 0
	global_wb scope:SCOPE_DEV
	s_wait_storecnt 0x0
	s_wait_loadcnt_dscnt 0x0
	global_inv scope:SCOPE_DEV
	v_cmpx_eq_u32_e32 0, v2
	s_cbranch_execz .LBB6_936
; %bb.935:                              ;   in Loop: Header=BB6_800 Depth=3
	s_bcnt1_i32_b32 s73, s73
	s_delay_alu instid0(SALU_CYCLE_1)
	v_mov_b32_e32 v2, s73
	s_wait_loadcnt 0x0
	ds_add_u64 v2, v[2:3]
	s_trap 2
.LBB6_936:                              ;   in Loop: Header=BB6_800 Depth=3
	s_or_b32 exec_lo, exec_lo, s17
	s_trap 2
	ds_load_b64 v[8:9], v2
	s_wait_dscnt 0x0
	v_add_nc_u64_e32 v[36:37], v[36:37], v[48:49]
	s_mov_b32 s17, exec_lo
	s_delay_alu instid0(VALU_DEP_1)
	v_cmpx_lt_u64_e64 v[8:9], v[36:37]
	s_cbranch_execz .LBB6_945
; %bb.937:                              ;   in Loop: Header=BB6_800 Depth=3
	s_mov_b32 s73, 0
	s_mov_b32 s76, 0
                                        ; implicit-def: $sgpr74
                                        ; implicit-def: $sgpr75
	s_branch .LBB6_939
.LBB6_938:                              ;   in Loop: Header=BB6_939 Depth=4
	s_or_b32 exec_lo, exec_lo, s78
	s_delay_alu instid0(SALU_CYCLE_1) | instskip(NEXT) | instid1(SALU_CYCLE_1)
	s_and_b32 s77, exec_lo, s79
	s_or_b32 s73, s77, s73
	s_and_not1_b32 s74, s74, exec_lo
	s_and_b32 s77, s75, exec_lo
	s_delay_alu instid0(SALU_CYCLE_1)
	s_or_b32 s74, s74, s77
	s_and_not1_b32 exec_lo, exec_lo, s73
	s_cbranch_execz .LBB6_943
.LBB6_939:                              ;   Parent Loop BB6_47 Depth=1
                                        ;     Parent Loop BB6_797 Depth=2
                                        ;       Parent Loop BB6_800 Depth=3
                                        ; =>      This Inner Loop Header: Depth=4
	s_add_co_i32 s76, s76, 1
	s_delay_alu instid0(SALU_CYCLE_1) | instskip(SKIP_1) | instid1(SALU_CYCLE_1)
	s_cmp_lg_u32 s76, 0x2710
	s_cselect_b32 s77, -1, 0
	s_and_b32 vcc_lo, exec_lo, s77
	s_cbranch_vccz .LBB6_941
; %bb.940:                              ;   in Loop: Header=BB6_939 Depth=4
	s_mov_b32 s79, -1
	s_or_b32 s75, s75, exec_lo
	s_and_saveexec_b32 s78, s77
	s_cbranch_execz .LBB6_938
	s_branch .LBB6_942
.LBB6_941:                              ;   in Loop: Header=BB6_939 Depth=4
	s_trap 2
	ds_load_b64 v[8:9], v2
	s_and_not1_b32 s77, s77, exec_lo
	s_mov_b32 s76, 0
	s_wait_loadcnt_dscnt 0x0
	flat_load_b32 v2, v[8:9] scope:SCOPE_SYS
	s_wait_loadcnt_dscnt 0x0
	global_inv scope:SCOPE_SYS
	v_cmp_eq_u32_e32 vcc_lo, 0, v2
	s_and_b32 s78, vcc_lo, exec_lo
	s_delay_alu instid0(SALU_CYCLE_1)
	s_or_b32 s77, s77, s78
	s_mov_b32 s79, -1
	s_or_b32 s75, s75, exec_lo
	s_and_saveexec_b32 s78, s77
	s_cbranch_execz .LBB6_938
.LBB6_942:                              ;   in Loop: Header=BB6_939 Depth=4
	s_sleep 1
	s_trap 2
	ds_load_b64 v[8:9], v2
	s_wait_dscnt 0x0
	s_and_not1_b32 s75, s75, exec_lo
	v_cmp_ge_u64_e32 vcc_lo, v[8:9], v[36:37]
	s_or_not1_b32 s79, vcc_lo, exec_lo
	s_branch .LBB6_938
.LBB6_943:                              ;   in Loop: Header=BB6_800 Depth=3
	s_or_b32 exec_lo, exec_lo, s73
	s_and_saveexec_b32 s73, s74
	s_delay_alu instid0(SALU_CYCLE_1)
	s_xor_b32 s73, exec_lo, s73
	s_cbranch_execz .LBB6_945
; %bb.944:                              ;   in Loop: Header=BB6_800 Depth=3
	ds_store_b32 v2, v121
	s_trap 2
.LBB6_945:                              ;   in Loop: Header=BB6_800 Depth=3
	s_or_b32 exec_lo, exec_lo, s17
	;;#ASMSTART
	s_wakeup
	;;#ASMEND
.LBB6_946:                              ;   in Loop: Header=BB6_800 Depth=3
	s_or_b32 exec_lo, exec_lo, s16
.LBB6_947:                              ;   in Loop: Header=BB6_800 Depth=3
	s_and_not1_saveexec_b32 s15, s15
	s_cbranch_execz .LBB6_949
; %bb.948:                              ;   in Loop: Header=BB6_800 Depth=3
	global_wb scope:SCOPE_DEV
	s_wait_storecnt 0x0
	s_wait_loadcnt_dscnt 0x0
	global_inv scope:SCOPE_DEV
	s_barrier_signal -1
	s_barrier_wait -1
.LBB6_949:                              ;   in Loop: Header=BB6_800 Depth=3
	s_or_b32 exec_lo, exec_lo, s15
	s_delay_alu instid0(SALU_CYCLE_1) | instskip(SKIP_1) | instid1(SALU_CYCLE_1)
	s_or_b32 exec_lo, exec_lo, s14
                                        ; implicit-def: $vgpr2
	s_and_saveexec_b32 s14, s12
	s_xor_b32 s14, exec_lo, s14
	s_cbranch_execnz .LBB6_877
.LBB6_950:                              ;   in Loop: Header=BB6_800 Depth=3
	s_and_not1_saveexec_b32 s13, s14
	s_cbranch_execz .LBB6_969
.LBB6_951:                              ;   in Loop: Header=BB6_800 Depth=3
	s_and_saveexec_b32 s14, s3
	s_delay_alu instid0(SALU_CYCLE_1)
	s_xor_b32 s14, exec_lo, s14
	s_cbranch_execz .LBB6_966
; %bb.952:                              ;   in Loop: Header=BB6_800 Depth=3
	s_and_saveexec_b32 s15, s6
	s_cbranch_execz .LBB6_965
; %bb.953:                              ;   in Loop: Header=BB6_800 Depth=3
	s_mov_b32 s17, exec_lo
	s_mov_b32 s16, exec_lo
	v_mbcnt_lo_u32_b32 v2, s17, 0
	;;#ASMSTART
	s_waitcnt lgkmcnt(0) vmcnt(0)
	;;#ASMEND
	s_delay_alu instid0(VALU_DEP_1)
	v_cmpx_eq_u32_e32 0, v2
	s_cbranch_execz .LBB6_955
; %bb.954:                              ;   in Loop: Header=BB6_800 Depth=3
	s_bcnt1_i32_b32 s17, s17
	s_delay_alu instid0(SALU_CYCLE_1)
	v_mov_b32_e32 v2, s17
	s_wait_storecnt 0x0
	s_wait_loadcnt_dscnt 0x0
	ds_add_u64 v2, v[2:3]
	s_trap 2
.LBB6_955:                              ;   in Loop: Header=BB6_800 Depth=3
	s_or_b32 exec_lo, exec_lo, s16
	s_trap 2
	ds_load_b64 v[8:9], v2
	s_wait_dscnt 0x0
	v_add_nc_u64_e32 v[36:37], v[36:37], v[48:49]
	s_mov_b32 s16, exec_lo
	s_delay_alu instid0(VALU_DEP_1)
	v_cmpx_lt_u64_e64 v[8:9], v[36:37]
	s_cbranch_execz .LBB6_964
; %bb.956:                              ;   in Loop: Header=BB6_800 Depth=3
	s_mov_b32 s17, 0
	s_mov_b32 s75, 0
                                        ; implicit-def: $sgpr73
                                        ; implicit-def: $sgpr74
	s_branch .LBB6_958
.LBB6_957:                              ;   in Loop: Header=BB6_958 Depth=4
	s_or_b32 exec_lo, exec_lo, s77
	s_delay_alu instid0(SALU_CYCLE_1) | instskip(NEXT) | instid1(SALU_CYCLE_1)
	s_and_b32 s76, exec_lo, s78
	s_or_b32 s17, s76, s17
	s_and_not1_b32 s73, s73, exec_lo
	s_and_b32 s76, s74, exec_lo
	s_delay_alu instid0(SALU_CYCLE_1)
	s_or_b32 s73, s73, s76
	s_and_not1_b32 exec_lo, exec_lo, s17
	s_cbranch_execz .LBB6_962
.LBB6_958:                              ;   Parent Loop BB6_47 Depth=1
                                        ;     Parent Loop BB6_797 Depth=2
                                        ;       Parent Loop BB6_800 Depth=3
                                        ; =>      This Inner Loop Header: Depth=4
	s_add_co_i32 s75, s75, 1
	s_delay_alu instid0(SALU_CYCLE_1) | instskip(SKIP_1) | instid1(SALU_CYCLE_1)
	s_cmp_lg_u32 s75, 0x2710
	s_cselect_b32 s76, -1, 0
	s_and_b32 vcc_lo, exec_lo, s76
	s_cbranch_vccz .LBB6_960
; %bb.959:                              ;   in Loop: Header=BB6_958 Depth=4
	s_mov_b32 s78, -1
	s_or_b32 s74, s74, exec_lo
	s_and_saveexec_b32 s77, s76
	s_cbranch_execz .LBB6_957
	s_branch .LBB6_961
.LBB6_960:                              ;   in Loop: Header=BB6_958 Depth=4
	s_trap 2
	ds_load_b64 v[8:9], v2
	s_and_not1_b32 s76, s76, exec_lo
	s_mov_b32 s75, 0
	s_wait_storecnt 0x0
	s_wait_loadcnt_dscnt 0x0
	flat_load_b32 v2, v[8:9] scope:SCOPE_SYS
	s_wait_loadcnt_dscnt 0x0
	global_inv scope:SCOPE_SYS
	v_cmp_eq_u32_e32 vcc_lo, 0, v2
	s_and_b32 s77, vcc_lo, exec_lo
	s_delay_alu instid0(SALU_CYCLE_1)
	s_or_b32 s76, s76, s77
	s_mov_b32 s78, -1
	s_or_b32 s74, s74, exec_lo
	s_and_saveexec_b32 s77, s76
	s_cbranch_execz .LBB6_957
.LBB6_961:                              ;   in Loop: Header=BB6_958 Depth=4
	s_sleep 1
	s_trap 2
	ds_load_b64 v[8:9], v2
	s_wait_dscnt 0x0
	s_and_not1_b32 s74, s74, exec_lo
	v_cmp_ge_u64_e32 vcc_lo, v[8:9], v[36:37]
	s_or_not1_b32 s78, vcc_lo, exec_lo
	s_branch .LBB6_957
.LBB6_962:                              ;   in Loop: Header=BB6_800 Depth=3
	s_or_b32 exec_lo, exec_lo, s17
	s_and_saveexec_b32 s17, s73
	s_delay_alu instid0(SALU_CYCLE_1)
	s_xor_b32 s17, exec_lo, s17
	s_cbranch_execz .LBB6_964
; %bb.963:                              ;   in Loop: Header=BB6_800 Depth=3
	ds_store_b32 v2, v121
	s_trap 2
.LBB6_964:                              ;   in Loop: Header=BB6_800 Depth=3
	s_or_b32 exec_lo, exec_lo, s16
	;;#ASMSTART
	s_wakeup
	;;#ASMEND
.LBB6_965:                              ;   in Loop: Header=BB6_800 Depth=3
	s_or_b32 exec_lo, exec_lo, s15
.LBB6_966:                              ;   in Loop: Header=BB6_800 Depth=3
	s_and_not1_saveexec_b32 s14, s14
	s_cbranch_execz .LBB6_968
; %bb.967:                              ;   in Loop: Header=BB6_800 Depth=3
	;;#ASMSTART
	s_waitcnt lgkmcnt(0) vmcnt(0)
	;;#ASMEND
	s_barrier_signal -1
	s_barrier_wait -1
.LBB6_968:                              ;   in Loop: Header=BB6_800 Depth=3
	s_or_b32 exec_lo, exec_lo, s14
	v_and_b32_e32 v2, 16, v30
.LBB6_969:                              ;   in Loop: Header=BB6_800 Depth=3
	s_or_b32 exec_lo, exec_lo, s13
	s_delay_alu instid0(VALU_DEP_1) | instskip(SKIP_1) | instid1(SALU_CYCLE_1)
	v_cmp_ne_u32_e32 vcc_lo, 0, v2
	s_xor_b32 s13, s4, -1
	s_and_b32 s14, vcc_lo, s13
	s_delay_alu instid0(SALU_CYCLE_1)
	s_and_saveexec_b32 s13, s14
	s_cbranch_execz .LBB6_971
; %bb.970:                              ;   in Loop: Header=BB6_800 Depth=3
	global_wb scope:SCOPE_SYS
	s_wait_storecnt 0x0
	s_wait_loadcnt_dscnt 0x0
	flat_store_b32 v[34:35], v121 scope:SCOPE_SYS
.LBB6_971:                              ;   in Loop: Header=BB6_800 Depth=3
	s_wait_xcnt 0x0
	s_or_b32 exec_lo, exec_lo, s13
	v_and_b32_e32 v2, 48, v30
	s_mov_b32 s13, exec_lo
	s_delay_alu instid0(VALU_DEP_1)
	v_cmpx_ne_u32_e32 0, v2
	s_cbranch_execz .LBB6_799
; %bb.972:                              ;   in Loop: Header=BB6_800 Depth=3
	v_add_nc_u64_e32 v[112:113], 2, v[112:113]
	global_wb scope:SCOPE_SYS
	s_wait_storecnt 0x0
	s_wait_loadcnt_dscnt 0x0
	flat_store_b64 v[26:27], v[112:113] scope:SCOPE_SYS
	s_branch .LBB6_799
.LBB6_973:                              ;   in Loop: Header=BB6_797 Depth=2
	s_or_b32 exec_lo, exec_lo, s44
.LBB6_974:                              ;   in Loop: Header=BB6_797 Depth=2
	s_delay_alu instid0(SALU_CYCLE_1) | instskip(NEXT) | instid1(SALU_CYCLE_1)
	s_or_b32 exec_lo, exec_lo, s41
	s_mov_b32 s14, exec_lo
	v_cmpx_gt_i32_e32 2, v2
	s_cbranch_execz .LBB6_1050
; %bb.975:                              ;   in Loop: Header=BB6_797 Depth=2
	v_cmp_eq_u32_e64 s16, 0, v2
	s_mov_b32 s15, 0
	s_branch .LBB6_977
.LBB6_976:                              ;   in Loop: Header=BB6_977 Depth=3
	s_wait_xcnt 0x0
	s_or_b32 exec_lo, exec_lo, s13
	v_add_nc_u32_e32 v14, v12, v14
	s_mov_b32 s16, 0
	s_and_not1_b32 exec_lo, exec_lo, s15
	s_cbranch_execz .LBB6_1049
.LBB6_977:                              ;   Parent Loop BB6_47 Depth=1
                                        ;     Parent Loop BB6_797 Depth=2
                                        ; =>    This Loop Header: Depth=3
                                        ;         Child Loop BB6_983 Depth 4
                                        ;         Child Loop BB6_1011 Depth 4
	;; [unrolled: 1-line block ×3, first 2 shown]
	s_delay_alu instid0(VALU_DEP_1) | instskip(SKIP_2) | instid1(VALU_DEP_2)
	v_sub_nc_u32_e32 v2, v22, v14
	v_and_b32_e32 v8, 12, v30
	s_mov_b32 s17, exec_lo
	v_min_i32_e32 v12, v12, v2
	s_delay_alu instid0(VALU_DEP_2)
	v_cmpx_ne_u32_e32 0, v8
	s_cbranch_execz .LBB6_1003
; %bb.978:                              ;   in Loop: Header=BB6_977 Depth=3
	v_and_b32_e32 v2, 8, v30
	v_add_nc_u64_e32 v[8:9], 2, v[112:113]
	s_mov_b32 s41, exec_lo
	s_wait_loadcnt_dscnt 0x1
	s_delay_alu instid0(VALU_DEP_2) | instskip(NEXT) | instid1(VALU_DEP_1)
	v_add_nc_u64_e32 v[10:11], v[38:39], v[2:3]
	v_cmpx_lt_u64_e64 v[10:11], v[8:9]
	s_cbranch_execz .LBB6_990
; %bb.979:                              ;   in Loop: Header=BB6_977 Depth=3
	v_and_b32_e32 v10, 64, v30
	s_mov_b32 s44, 0
	s_mov_b32 s74, 0
                                        ; implicit-def: $sgpr45
                                        ; implicit-def: $sgpr72
                                        ; implicit-def: $sgpr73
	s_delay_alu instid0(VALU_DEP_1)
	v_cmp_eq_u32_e32 vcc_lo, 0, v10
	s_branch .LBB6_983
.LBB6_980:                              ;   in Loop: Header=BB6_983 Depth=4
	s_wait_loadcnt_dscnt 0x0
	v_add_nc_u64_e32 v[16:17], v[38:39], v[2:3]
	s_or_b32 s77, s77, exec_lo
	s_delay_alu instid0(VALU_DEP_1)
	v_cmp_ge_u64_e64 s13, v[16:17], v[8:9]
	s_or_not1_b32 s76, s13, exec_lo
.LBB6_981:                              ;   in Loop: Header=BB6_983 Depth=4
	s_or_b32 exec_lo, exec_lo, s79
	s_delay_alu instid0(SALU_CYCLE_1)
	s_and_not1_b32 s13, s73, exec_lo
	s_and_b32 s73, s77, exec_lo
	s_and_not1_b32 s72, s72, exec_lo
	s_and_b32 s76, s76, exec_lo
	s_or_b32 s73, s13, s73
	s_or_b32 s72, s72, s76
.LBB6_982:                              ;   in Loop: Header=BB6_983 Depth=4
	s_or_b32 exec_lo, exec_lo, s75
	s_delay_alu instid0(SALU_CYCLE_1) | instskip(NEXT) | instid1(SALU_CYCLE_1)
	s_and_b32 s13, exec_lo, s72
	s_or_b32 s44, s13, s44
	s_and_not1_b32 s13, s45, exec_lo
	s_and_b32 s45, s73, exec_lo
	s_delay_alu instid0(SALU_CYCLE_1)
	s_or_b32 s45, s13, s45
	s_and_not1_b32 exec_lo, exec_lo, s44
	s_cbranch_execz .LBB6_987
.LBB6_983:                              ;   Parent Loop BB6_47 Depth=1
                                        ;     Parent Loop BB6_797 Depth=2
                                        ;       Parent Loop BB6_977 Depth=3
                                        ; =>      This Inner Loop Header: Depth=4
	s_sleep 1
	s_wait_loadcnt_dscnt 0x0
	flat_load_b64 v[38:39], v[26:27] scope:SCOPE_SYS
	s_or_b32 s73, s73, exec_lo
	s_or_b32 s72, s72, exec_lo
                                        ; implicit-def: $vgpr10
	s_wait_xcnt 0x0
	s_and_saveexec_b32 s75, vcc_lo
	s_cbranch_execz .LBB6_982
; %bb.984:                              ;   in Loop: Header=BB6_983 Depth=4
	s_cmp_lt_i32 s74, 0x270f
	s_mov_b32 s76, -1
	s_cselect_b32 s78, -1, 0
	s_cmp_gt_i32 s74, 0x270e
	s_cbranch_scc0 .LBB6_986
; %bb.985:                              ;   in Loop: Header=BB6_983 Depth=4
	s_trap 2
	ds_load_b64 v[10:11], v11
	s_and_not1_b32 s74, s78, exec_lo
	s_mov_b32 s77, 0
	s_wait_storecnt 0x0
	s_wait_loadcnt_dscnt 0x0
	flat_load_b32 v10, v[10:11] scope:SCOPE_SYS
	s_wait_loadcnt_dscnt 0x0
	global_inv scope:SCOPE_SYS
	v_cmp_eq_u32_e64 s13, 0, v10
	s_and_b32 s13, s13, exec_lo
	s_delay_alu instid0(SALU_CYCLE_1)
	s_or_b32 s78, s74, s13
	s_mov_b32 s74, 0
	s_and_saveexec_b32 s79, s78
	s_cbranch_execz .LBB6_981
	s_branch .LBB6_980
.LBB6_986:                              ;   in Loop: Header=BB6_983 Depth=4
	s_add_co_i32 s74, s74, 1
	s_mov_b32 s77, -1
                                        ; implicit-def: $vgpr10
	s_and_saveexec_b32 s79, s78
	s_cbranch_execz .LBB6_981
	s_branch .LBB6_980
.LBB6_987:                              ;   in Loop: Header=BB6_977 Depth=3
	s_or_b32 exec_lo, exec_lo, s44
	s_xor_b32 s13, s45, -1
	s_delay_alu instid0(SALU_CYCLE_1) | instskip(NEXT) | instid1(SALU_CYCLE_1)
	s_and_saveexec_b32 s44, s13
	s_xor_b32 s13, exec_lo, s44
	s_cbranch_execz .LBB6_989
; %bb.988:                              ;   in Loop: Header=BB6_977 Depth=3
	v_or_b32_e32 v30, 64, v30
	s_wait_storecnt 0x0
	s_wait_loadcnt_dscnt 0x0
	ds_store_b32 v11, v10
	s_trap 2
.LBB6_989:                              ;   in Loop: Header=BB6_977 Depth=3
	s_or_b32 exec_lo, exec_lo, s13
.LBB6_990:                              ;   in Loop: Header=BB6_977 Depth=3
	s_delay_alu instid0(SALU_CYCLE_1) | instskip(SKIP_2) | instid1(VALU_DEP_1)
	s_or_b32 exec_lo, exec_lo, s41
	v_and_b32_e32 v10, 0x108, v30
	;;#ASMSTART
	s_wakeup
	;;#ASMEND
	v_cmp_ne_u32_e32 vcc_lo, 0x108, v10
                                        ; implicit-def: $vgpr10_vgpr11
	s_and_saveexec_b32 s13, vcc_lo
	s_delay_alu instid0(SALU_CYCLE_1)
	s_xor_b32 s13, exec_lo, s13
; %bb.991:                              ;   in Loop: Header=BB6_977 Depth=3
	v_dual_mov_b32 v11, v3 :: v_dual_bitop2_b32 v10, 7, v112 bitop3:0x40
                                        ; implicit-def: $vgpr112_vgpr113
; %bb.992:                              ;   in Loop: Header=BB6_977 Depth=3
	s_and_not1_saveexec_b32 s13, s13
	s_cbranch_execz .LBB6_994
; %bb.993:                              ;   in Loop: Header=BB6_977 Depth=3
	v_dual_mov_b32 v11, v3 :: v_dual_bitop2_b32 v10, 7, v112 bitop3:0x40
	v_ashrrev_i32_e32 v13, 31, v12
	s_delay_alu instid0(VALU_DEP_2) | instskip(NEXT) | instid1(VALU_DEP_2)
	v_mad_nc_u64_u32 v[16:17], v10, 24, v[6:7]
	v_lshlrev_b64_e32 v[18:19], 3, v[12:13]
	flat_store_b64 v[16:17], v[18:19] offset:8
.LBB6_994:                              ;   in Loop: Header=BB6_977 Depth=3
	s_wait_xcnt 0x0
	s_or_b32 exec_lo, exec_lo, s13
	v_and_b32_e32 v13, 0x100, v30
	s_mov_b32 s13, -1
	s_mov_b32 s41, exec_lo
                                        ; implicit-def: $vgpr16_vgpr17
	s_delay_alu instid0(VALU_DEP_1)
	v_cmpx_ne_u32_e32 0, v13
	s_cbranch_execz .LBB6_998
; %bb.995:                              ;   in Loop: Header=BB6_977 Depth=3
	v_mad_nc_u64_u32 v[18:19], v10, 24, v[6:7]
	s_mov_b32 s44, exec_lo
                                        ; implicit-def: $vgpr16_vgpr17
	s_delay_alu instid0(VALU_DEP_1)
	v_mad_u32 v19, v11, 24, v19
	flat_load_b32 v13, v[18:19]
	s_wait_loadcnt_dscnt 0x0
	v_cmp_ne_u32_e32 vcc_lo, 1, v13
	s_wait_xcnt 0x0
	v_cmpx_eq_u32_e32 1, v13
	s_cbranch_execz .LBB6_997
; %bb.996:                              ;   in Loop: Header=BB6_977 Depth=3
	flat_load_b32 v16, v[18:19] offset:4 scope:SCOPE_SYS
	s_wait_loadcnt_dscnt 0x0
	v_ashrrev_i32_e32 v17, 31, v16
	s_delay_alu instid0(VALU_DEP_1)
	v_lshrrev_b64 v[16:17], 3, v[16:17]
.LBB6_997:                              ;   in Loop: Header=BB6_977 Depth=3
	s_wait_xcnt 0x0
	s_or_b32 exec_lo, exec_lo, s44
	s_delay_alu instid0(SALU_CYCLE_1)
	s_or_not1_b32 s13, vcc_lo, exec_lo
.LBB6_998:                              ;   in Loop: Header=BB6_977 Depth=3
	s_or_b32 exec_lo, exec_lo, s41
	s_and_saveexec_b32 s41, s13
; %bb.999:                              ;   in Loop: Header=BB6_977 Depth=3
	v_mul_u64_e32 v[16:17], v[10:11], v[28:29]
; %bb.1000:                             ;   in Loop: Header=BB6_977 Depth=3
	s_or_b32 exec_lo, exec_lo, s41
	v_cmp_eq_u32_e32 vcc_lo, 0, v2
	v_and_b32_e32 v13, 0x2000, v30
	s_delay_alu instid0(VALU_DEP_3) | instskip(SKIP_2) | instid1(VALU_DEP_1)
	v_lshl_add_u64 v[10:11], v[16:17], 3, v[32:33]
	s_mov_b32 s13, exec_lo
	v_cndmask_b32_e32 v2, 0xd0, v123, vcc_lo
	v_add_nc_u32_e32 v2, v0, v2
	ds_store_b64 v2, v[10:11] offset:584
	v_cmpx_ne_u32_e32 0, v13
	s_cbranch_execz .LBB6_1002
; %bb.1001:                             ;   in Loop: Header=BB6_977 Depth=3
	ds_load_b64 v[10:11], v0 offset:872
	s_wait_dscnt 0x0
	v_add_nc_u64_e32 v[10:11], 1, v[10:11]
	ds_store_b64 v0, v[10:11] offset:872
.LBB6_1002:                             ;   in Loop: Header=BB6_977 Depth=3
	s_or_b32 exec_lo, exec_lo, s13
	v_mov_b64_e32 v[112:113], v[8:9]
.LBB6_1003:                             ;   in Loop: Header=BB6_977 Depth=3
	s_or_b32 exec_lo, exec_lo, s17
	s_xor_b32 s13, s16, -1
	s_delay_alu instid0(SALU_CYCLE_1) | instskip(NEXT) | instid1(SALU_CYCLE_1)
	s_and_b32 s13, exec_lo, s13
	s_or_b32 s15, s13, s15
	s_and_saveexec_b32 s13, s2
	s_cbranch_execz .LBB6_1022
; %bb.1004:                             ;   in Loop: Header=BB6_977 Depth=3
	s_and_saveexec_b32 s16, s3
	s_delay_alu instid0(SALU_CYCLE_1)
	s_xor_b32 s16, exec_lo, s16
	s_cbranch_execz .LBB6_1019
; %bb.1005:                             ;   in Loop: Header=BB6_977 Depth=3
	s_and_saveexec_b32 s17, s6
	s_cbranch_execz .LBB6_1018
; %bb.1006:                             ;   in Loop: Header=BB6_977 Depth=3
	s_mov_b32 s44, exec_lo
	s_mov_b32 s41, exec_lo
	v_mbcnt_lo_u32_b32 v2, s44, 0
	global_wb scope:SCOPE_DEV
	s_wait_storecnt 0x0
	s_wait_loadcnt_dscnt 0x0
	global_inv scope:SCOPE_DEV
	v_cmpx_eq_u32_e32 0, v2
	s_cbranch_execz .LBB6_1008
; %bb.1007:                             ;   in Loop: Header=BB6_977 Depth=3
	s_bcnt1_i32_b32 s44, s44
	s_delay_alu instid0(SALU_CYCLE_1)
	v_mov_b32_e32 v2, s44
	s_wait_loadcnt 0x0
	ds_add_u64 v2, v[2:3]
	s_trap 2
.LBB6_1008:                             ;   in Loop: Header=BB6_977 Depth=3
	s_or_b32 exec_lo, exec_lo, s41
	s_trap 2
	ds_load_b64 v[8:9], v2
	s_wait_dscnt 0x0
	v_add_nc_u64_e32 v[36:37], v[36:37], v[48:49]
	s_mov_b32 s41, exec_lo
	s_delay_alu instid0(VALU_DEP_1)
	v_cmpx_lt_u64_e64 v[8:9], v[36:37]
	s_cbranch_execz .LBB6_1017
; %bb.1009:                             ;   in Loop: Header=BB6_977 Depth=3
	s_mov_b32 s44, 0
	s_mov_b32 s73, 0
                                        ; implicit-def: $sgpr45
                                        ; implicit-def: $sgpr72
	s_branch .LBB6_1011
.LBB6_1010:                             ;   in Loop: Header=BB6_1011 Depth=4
	s_or_b32 exec_lo, exec_lo, s75
	s_delay_alu instid0(SALU_CYCLE_1) | instskip(NEXT) | instid1(SALU_CYCLE_1)
	s_and_b32 s74, exec_lo, s76
	s_or_b32 s44, s74, s44
	s_and_not1_b32 s45, s45, exec_lo
	s_and_b32 s74, s72, exec_lo
	s_delay_alu instid0(SALU_CYCLE_1)
	s_or_b32 s45, s45, s74
	s_and_not1_b32 exec_lo, exec_lo, s44
	s_cbranch_execz .LBB6_1015
.LBB6_1011:                             ;   Parent Loop BB6_47 Depth=1
                                        ;     Parent Loop BB6_797 Depth=2
                                        ;       Parent Loop BB6_977 Depth=3
                                        ; =>      This Inner Loop Header: Depth=4
	s_add_co_i32 s73, s73, 1
	s_delay_alu instid0(SALU_CYCLE_1) | instskip(SKIP_1) | instid1(SALU_CYCLE_1)
	s_cmp_lg_u32 s73, 0x2710
	s_cselect_b32 s74, -1, 0
	s_and_b32 vcc_lo, exec_lo, s74
	s_cbranch_vccz .LBB6_1013
; %bb.1012:                             ;   in Loop: Header=BB6_1011 Depth=4
	s_mov_b32 s76, -1
	s_or_b32 s72, s72, exec_lo
	s_and_saveexec_b32 s75, s74
	s_cbranch_execz .LBB6_1010
	s_branch .LBB6_1014
.LBB6_1013:                             ;   in Loop: Header=BB6_1011 Depth=4
	s_trap 2
	ds_load_b64 v[8:9], v2
	s_and_not1_b32 s74, s74, exec_lo
	s_mov_b32 s73, 0
	s_wait_loadcnt_dscnt 0x0
	flat_load_b32 v2, v[8:9] scope:SCOPE_SYS
	s_wait_loadcnt_dscnt 0x0
	global_inv scope:SCOPE_SYS
	v_cmp_eq_u32_e32 vcc_lo, 0, v2
	s_and_b32 s75, vcc_lo, exec_lo
	s_delay_alu instid0(SALU_CYCLE_1)
	s_or_b32 s74, s74, s75
	s_mov_b32 s76, -1
	s_or_b32 s72, s72, exec_lo
	s_and_saveexec_b32 s75, s74
	s_cbranch_execz .LBB6_1010
.LBB6_1014:                             ;   in Loop: Header=BB6_1011 Depth=4
	s_sleep 1
	s_trap 2
	ds_load_b64 v[8:9], v2
	s_wait_dscnt 0x0
	s_and_not1_b32 s72, s72, exec_lo
	v_cmp_ge_u64_e32 vcc_lo, v[8:9], v[36:37]
	s_or_not1_b32 s76, vcc_lo, exec_lo
	s_branch .LBB6_1010
.LBB6_1015:                             ;   in Loop: Header=BB6_977 Depth=3
	s_or_b32 exec_lo, exec_lo, s44
	s_and_saveexec_b32 s44, s45
	s_delay_alu instid0(SALU_CYCLE_1)
	s_xor_b32 s44, exec_lo, s44
	s_cbranch_execz .LBB6_1017
; %bb.1016:                             ;   in Loop: Header=BB6_977 Depth=3
	ds_store_b32 v2, v121
	s_trap 2
.LBB6_1017:                             ;   in Loop: Header=BB6_977 Depth=3
	s_or_b32 exec_lo, exec_lo, s41
	;;#ASMSTART
	s_wakeup
	;;#ASMEND
.LBB6_1018:                             ;   in Loop: Header=BB6_977 Depth=3
	s_or_b32 exec_lo, exec_lo, s17
.LBB6_1019:                             ;   in Loop: Header=BB6_977 Depth=3
	s_and_not1_saveexec_b32 s16, s16
	s_cbranch_execz .LBB6_1021
; %bb.1020:                             ;   in Loop: Header=BB6_977 Depth=3
	global_wb scope:SCOPE_DEV
	s_wait_storecnt 0x0
	s_wait_loadcnt_dscnt 0x0
	global_inv scope:SCOPE_DEV
	s_barrier_signal -1
	s_barrier_wait -1
.LBB6_1021:                             ;   in Loop: Header=BB6_977 Depth=3
	s_or_b32 exec_lo, exec_lo, s16
.LBB6_1022:                             ;   in Loop: Header=BB6_977 Depth=3
	s_delay_alu instid0(SALU_CYCLE_1) | instskip(SKIP_1) | instid1(SALU_CYCLE_1)
	s_or_b32 exec_lo, exec_lo, s13
                                        ; implicit-def: $vgpr2
	s_and_saveexec_b32 s13, s12
	s_xor_b32 s16, exec_lo, s13
	s_cbranch_execz .LBB6_1026
; %bb.1023:                             ;   in Loop: Header=BB6_977 Depth=3
	s_trap 2
	ds_load_b32 v2, v8
	v_cmp_lt_i32_e32 vcc_lo, 0, v12
	s_wait_dscnt 0x0
	v_readfirstlane_b32 s13, v2
	v_and_b32_e32 v2, 16, v30
	s_cmp_eq_u32 s13, 0
	s_delay_alu instid0(VALU_DEP_1) | instskip(SKIP_3) | instid1(SALU_CYCLE_1)
	v_cmp_ne_u32_e64 s13, 0, v2
	s_cselect_b32 s17, -1, 0
	v_and_b32_e32 v2, 16, v30
	s_and_b32 s17, vcc_lo, s17
	s_and_b32 s17, s13, s17
	s_delay_alu instid0(SALU_CYCLE_1)
	s_and_saveexec_b32 s13, s17
	s_cbranch_execz .LBB6_1025
; %bb.1024:                             ;   in Loop: Header=BB6_977 Depth=3
	v_mov_b32_e32 v2, 1
	global_wb scope:SCOPE_SYS
	s_wait_loadcnt 0x0
	s_wait_storecnt 0x0
	global_inv scope:SCOPE_SYS
.LBB6_1025:                             ;   in Loop: Header=BB6_977 Depth=3
	s_or_b32 exec_lo, exec_lo, s13
	s_and_not1_saveexec_b32 s13, s16
	s_cbranch_execz .LBB6_1045
	s_branch .LBB6_1027
.LBB6_1026:                             ;   in Loop: Header=BB6_977 Depth=3
	s_and_not1_saveexec_b32 s13, s16
	s_cbranch_execz .LBB6_1045
.LBB6_1027:                             ;   in Loop: Header=BB6_977 Depth=3
	s_and_saveexec_b32 s16, s3
	s_delay_alu instid0(SALU_CYCLE_1)
	s_xor_b32 s16, exec_lo, s16
	s_cbranch_execz .LBB6_1042
; %bb.1028:                             ;   in Loop: Header=BB6_977 Depth=3
	s_and_saveexec_b32 s17, s6
	s_cbranch_execz .LBB6_1041
; %bb.1029:                             ;   in Loop: Header=BB6_977 Depth=3
	s_mov_b32 s44, exec_lo
	s_mov_b32 s41, exec_lo
	v_mbcnt_lo_u32_b32 v2, s44, 0
	;;#ASMSTART
	s_waitcnt lgkmcnt(0) vmcnt(0)
	;;#ASMEND
	s_delay_alu instid0(VALU_DEP_1)
	v_cmpx_eq_u32_e32 0, v2
	s_cbranch_execz .LBB6_1031
; %bb.1030:                             ;   in Loop: Header=BB6_977 Depth=3
	s_bcnt1_i32_b32 s44, s44
	s_delay_alu instid0(SALU_CYCLE_1)
	v_mov_b32_e32 v2, s44
	s_wait_storecnt 0x0
	s_wait_loadcnt_dscnt 0x0
	ds_add_u64 v2, v[2:3]
	s_trap 2
.LBB6_1031:                             ;   in Loop: Header=BB6_977 Depth=3
	s_or_b32 exec_lo, exec_lo, s41
	s_trap 2
	ds_load_b64 v[8:9], v2
	s_wait_dscnt 0x0
	v_add_nc_u64_e32 v[36:37], v[36:37], v[48:49]
	s_mov_b32 s41, exec_lo
	s_delay_alu instid0(VALU_DEP_1)
	v_cmpx_lt_u64_e64 v[8:9], v[36:37]
	s_cbranch_execz .LBB6_1040
; %bb.1032:                             ;   in Loop: Header=BB6_977 Depth=3
	s_mov_b32 s44, 0
	s_mov_b32 s73, 0
                                        ; implicit-def: $sgpr45
                                        ; implicit-def: $sgpr72
	s_branch .LBB6_1034
.LBB6_1033:                             ;   in Loop: Header=BB6_1034 Depth=4
	s_or_b32 exec_lo, exec_lo, s75
	s_delay_alu instid0(SALU_CYCLE_1) | instskip(NEXT) | instid1(SALU_CYCLE_1)
	s_and_b32 s74, exec_lo, s76
	s_or_b32 s44, s74, s44
	s_and_not1_b32 s45, s45, exec_lo
	s_and_b32 s74, s72, exec_lo
	s_delay_alu instid0(SALU_CYCLE_1)
	s_or_b32 s45, s45, s74
	s_and_not1_b32 exec_lo, exec_lo, s44
	s_cbranch_execz .LBB6_1038
.LBB6_1034:                             ;   Parent Loop BB6_47 Depth=1
                                        ;     Parent Loop BB6_797 Depth=2
                                        ;       Parent Loop BB6_977 Depth=3
                                        ; =>      This Inner Loop Header: Depth=4
	s_add_co_i32 s73, s73, 1
	s_delay_alu instid0(SALU_CYCLE_1) | instskip(SKIP_1) | instid1(SALU_CYCLE_1)
	s_cmp_lg_u32 s73, 0x2710
	s_cselect_b32 s74, -1, 0
	s_and_b32 vcc_lo, exec_lo, s74
	s_cbranch_vccz .LBB6_1036
; %bb.1035:                             ;   in Loop: Header=BB6_1034 Depth=4
	s_mov_b32 s76, -1
	s_or_b32 s72, s72, exec_lo
	s_and_saveexec_b32 s75, s74
	s_cbranch_execz .LBB6_1033
	s_branch .LBB6_1037
.LBB6_1036:                             ;   in Loop: Header=BB6_1034 Depth=4
	s_trap 2
	ds_load_b64 v[8:9], v2
	s_and_not1_b32 s74, s74, exec_lo
	s_mov_b32 s73, 0
	s_wait_storecnt 0x0
	s_wait_loadcnt_dscnt 0x0
	flat_load_b32 v2, v[8:9] scope:SCOPE_SYS
	s_wait_loadcnt_dscnt 0x0
	global_inv scope:SCOPE_SYS
	v_cmp_eq_u32_e32 vcc_lo, 0, v2
	s_and_b32 s75, vcc_lo, exec_lo
	s_delay_alu instid0(SALU_CYCLE_1)
	s_or_b32 s74, s74, s75
	s_mov_b32 s76, -1
	s_or_b32 s72, s72, exec_lo
	s_and_saveexec_b32 s75, s74
	s_cbranch_execz .LBB6_1033
.LBB6_1037:                             ;   in Loop: Header=BB6_1034 Depth=4
	s_sleep 1
	s_trap 2
	ds_load_b64 v[8:9], v2
	s_wait_dscnt 0x0
	s_and_not1_b32 s72, s72, exec_lo
	v_cmp_ge_u64_e32 vcc_lo, v[8:9], v[36:37]
	s_or_not1_b32 s76, vcc_lo, exec_lo
	s_branch .LBB6_1033
.LBB6_1038:                             ;   in Loop: Header=BB6_977 Depth=3
	s_or_b32 exec_lo, exec_lo, s44
	s_and_saveexec_b32 s44, s45
	s_delay_alu instid0(SALU_CYCLE_1)
	s_xor_b32 s44, exec_lo, s44
	s_cbranch_execz .LBB6_1040
; %bb.1039:                             ;   in Loop: Header=BB6_977 Depth=3
	ds_store_b32 v2, v121
	s_trap 2
.LBB6_1040:                             ;   in Loop: Header=BB6_977 Depth=3
	s_or_b32 exec_lo, exec_lo, s41
	;;#ASMSTART
	s_wakeup
	;;#ASMEND
.LBB6_1041:                             ;   in Loop: Header=BB6_977 Depth=3
	s_or_b32 exec_lo, exec_lo, s17
.LBB6_1042:                             ;   in Loop: Header=BB6_977 Depth=3
	s_and_not1_saveexec_b32 s16, s16
	s_cbranch_execz .LBB6_1044
; %bb.1043:                             ;   in Loop: Header=BB6_977 Depth=3
	;;#ASMSTART
	s_waitcnt lgkmcnt(0) vmcnt(0)
	;;#ASMEND
	s_barrier_signal -1
	s_barrier_wait -1
.LBB6_1044:                             ;   in Loop: Header=BB6_977 Depth=3
	s_or_b32 exec_lo, exec_lo, s16
	v_and_b32_e32 v2, 16, v30
.LBB6_1045:                             ;   in Loop: Header=BB6_977 Depth=3
	s_or_b32 exec_lo, exec_lo, s13
	s_delay_alu instid0(VALU_DEP_1) | instskip(SKIP_1) | instid1(SALU_CYCLE_1)
	v_cmp_ne_u32_e32 vcc_lo, 0, v2
	s_xor_b32 s13, s4, -1
	s_and_b32 s16, vcc_lo, s13
	s_delay_alu instid0(SALU_CYCLE_1)
	s_and_saveexec_b32 s13, s16
	s_cbranch_execz .LBB6_1047
; %bb.1046:                             ;   in Loop: Header=BB6_977 Depth=3
	global_wb scope:SCOPE_SYS
	s_wait_storecnt 0x0
	s_wait_loadcnt_dscnt 0x0
	flat_store_b32 v[34:35], v121 scope:SCOPE_SYS
.LBB6_1047:                             ;   in Loop: Header=BB6_977 Depth=3
	s_wait_xcnt 0x0
	s_or_b32 exec_lo, exec_lo, s13
	v_and_b32_e32 v2, 48, v30
	s_mov_b32 s13, exec_lo
	s_delay_alu instid0(VALU_DEP_1)
	v_cmpx_ne_u32_e32 0, v2
	s_cbranch_execz .LBB6_976
; %bb.1048:                             ;   in Loop: Header=BB6_977 Depth=3
	v_add_nc_u64_e32 v[112:113], 2, v[112:113]
	global_wb scope:SCOPE_SYS
	s_wait_storecnt 0x0
	s_wait_loadcnt_dscnt 0x0
	flat_store_b64 v[26:27], v[112:113] scope:SCOPE_SYS
	s_branch .LBB6_976
.LBB6_1049:                             ;   in Loop: Header=BB6_797 Depth=2
	s_or_b32 exec_lo, exec_lo, s15
.LBB6_1050:                             ;   in Loop: Header=BB6_797 Depth=2
	s_delay_alu instid0(SALU_CYCLE_1)
	s_or_b32 exec_lo, exec_lo, s14
	s_add_co_i32 s13, s20, 1
	s_cmp_eq_u32 s20, s60
	s_cbranch_scc1 .LBB6_1052
; %bb.1051:                             ;   in Loop: Header=BB6_797 Depth=2
	s_mov_b32 s20, s13
	s_branch .LBB6_797
.LBB6_1052:                             ;   in Loop: Header=BB6_47 Depth=1
	v_mul_u64_e32 v[10:11], s[42:43], v[102:103]
	s_delay_alu instid0(VALU_DEP_1) | instskip(NEXT) | instid1(VALU_DEP_1)
	v_sub_nc_u64_e32 v[8:9], v[114:115], v[10:11]
	v_min_i64 v[8:9], v[102:103], v[8:9]
	s_delay_alu instid0(VALU_DEP_1) | instskip(SKIP_1) | instid1(VALU_DEP_2)
	v_max_i32_e32 v22, 0, v8
	v_cmp_lt_i32_e32 vcc_lo, 0, v8
	v_dual_mov_b32 v8, 0 :: v_dual_add_nc_u32 v2, 31, v22
	s_and_b32 s13, s61, vcc_lo
	s_delay_alu instid0(VALU_DEP_1) | instskip(NEXT) | instid1(VALU_DEP_1)
	v_lshrrev_b32_e32 v2, 1, v2
	v_and_b32_e32 v9, 0x3ffffff0, v2
	s_delay_alu instid0(VALU_DEP_1)
	v_dual_mov_b32 v2, 0 :: v_dual_max_i32 v23, s57, v9
	s_and_saveexec_b32 s14, s13
	s_cbranch_execz .LBB6_1190
; %bb.1053:                             ;   in Loop: Header=BB6_47 Depth=1
	v_add_nc_u64_e32 v[8:9], v[10:11], v[116:117]
	s_mov_b32 s17, 1
	s_mov_b32 s16, -1
	s_mov_b32 s15, 0
	s_delay_alu instid0(VALU_DEP_1)
	v_lshlrev_b64_e32 v[10:11], 3, v[8:9]
	v_mov_b32_e32 v8, 0
	s_branch .LBB6_1055
.LBB6_1054:                             ;   in Loop: Header=BB6_1055 Depth=2
	s_wait_xcnt 0x0
	s_or_b32 exec_lo, exec_lo, s13
	v_dual_add_nc_u32 v8, v23, v8 :: v_dual_mov_b32 v2, s17
	s_xor_b32 s13, s16, -1
	s_mov_b32 s16, 0
	s_mov_b32 s17, 2
	s_delay_alu instid0(VALU_DEP_1) | instskip(SKIP_1) | instid1(SALU_CYCLE_1)
	v_cmp_ge_i32_e32 vcc_lo, v8, v22
	s_or_b32 s13, s13, vcc_lo
	s_and_b32 s13, exec_lo, s13
	s_delay_alu instid0(SALU_CYCLE_1) | instskip(NEXT) | instid1(SALU_CYCLE_1)
	s_or_b32 s15, s13, s15
	s_and_not1_b32 exec_lo, exec_lo, s15
	s_cbranch_execz .LBB6_1189
.LBB6_1055:                             ;   Parent Loop BB6_47 Depth=1
                                        ; =>  This Loop Header: Depth=2
                                        ;       Child Loop BB6_1063 Depth 3
                                        ;       Child Loop BB6_1087 Depth 3
	;; [unrolled: 1-line block ×9, first 2 shown]
	s_and_saveexec_b32 s13, s0
	s_cbranch_execz .LBB6_1057
; %bb.1056:                             ;   in Loop: Header=BB6_1055 Depth=2
	s_trap 2
	ds_load_b128 v[12:15], v2
	s_wait_dscnt 0x0
	v_cmp_ne_u64_e32 vcc_lo, 0, v[14:15]
	v_ashrrev_i32_e32 v9, 31, v8
	v_add_nc_u64_e32 v[18:19], v[14:15], v[10:11]
	v_add_nc_u64_e32 v[12:13], v[12:13], v[10:11]
	s_delay_alu instid0(VALU_DEP_3) | instskip(NEXT) | instid1(VALU_DEP_1)
	v_lshlrev_b64_e32 v[16:17], 3, v[8:9]
	v_add_nc_u64_e32 v[18:19], v[18:19], v[16:17]
	s_delay_alu instid0(VALU_DEP_3) | instskip(NEXT) | instid1(VALU_DEP_2)
	v_add_nc_u64_e32 v[12:13], v[12:13], v[16:17]
	v_dual_cndmask_b32 v15, 0, v19 :: v_dual_cndmask_b32 v14, 0, v18
	ds_store_b64 v2, v[12:13]
	ds_store_b64 v2, v[14:15]
.LBB6_1057:                             ;   in Loop: Header=BB6_1055 Depth=2
	s_or_b32 exec_lo, exec_lo, s13
	v_and_b32_e32 v2, 4, v30
	s_mov_b32 s20, exec_lo
	s_delay_alu instid0(VALU_DEP_1)
	v_cmpx_ne_u32_e32 0, v2
	s_cbranch_execz .LBB6_1079
; %bb.1058:                             ;   in Loop: Header=BB6_1055 Depth=2
	v_add_nc_u64_e32 v[12:13], 2, v[112:113]
	s_mov_b32 s41, exec_lo
	s_wait_loadcnt_dscnt 0x1
	s_delay_alu instid0(VALU_DEP_1)
	v_cmpx_lt_u64_e64 v[38:39], v[12:13]
	s_cbranch_execz .LBB6_1070
; %bb.1059:                             ;   in Loop: Header=BB6_1055 Depth=2
	v_and_b32_e32 v2, 64, v30
	s_mov_b32 s44, 0
	s_mov_b32 s74, 0
                                        ; implicit-def: $sgpr45
                                        ; implicit-def: $sgpr72
                                        ; implicit-def: $sgpr73
	s_delay_alu instid0(VALU_DEP_1)
	v_cmp_eq_u32_e32 vcc_lo, 0, v2
	s_branch .LBB6_1063
.LBB6_1060:                             ;   in Loop: Header=BB6_1063 Depth=3
	s_wait_loadcnt_dscnt 0x0
	v_cmp_ge_u64_e64 s13, v[38:39], v[12:13]
	s_or_b32 s77, s77, exec_lo
	s_or_not1_b32 s76, s13, exec_lo
.LBB6_1061:                             ;   in Loop: Header=BB6_1063 Depth=3
	s_or_b32 exec_lo, exec_lo, s79
	s_delay_alu instid0(SALU_CYCLE_1)
	s_and_not1_b32 s13, s73, exec_lo
	s_and_b32 s73, s77, exec_lo
	s_and_not1_b32 s72, s72, exec_lo
	s_and_b32 s76, s76, exec_lo
	s_or_b32 s73, s13, s73
	s_or_b32 s72, s72, s76
.LBB6_1062:                             ;   in Loop: Header=BB6_1063 Depth=3
	s_or_b32 exec_lo, exec_lo, s75
	s_delay_alu instid0(SALU_CYCLE_1) | instskip(NEXT) | instid1(SALU_CYCLE_1)
	s_and_b32 s13, exec_lo, s72
	s_or_b32 s44, s13, s44
	s_and_not1_b32 s13, s45, exec_lo
	s_and_b32 s45, s73, exec_lo
	s_delay_alu instid0(SALU_CYCLE_1)
	s_or_b32 s45, s13, s45
	s_and_not1_b32 exec_lo, exec_lo, s44
	s_cbranch_execz .LBB6_1067
.LBB6_1063:                             ;   Parent Loop BB6_47 Depth=1
                                        ;     Parent Loop BB6_1055 Depth=2
                                        ; =>    This Inner Loop Header: Depth=3
	s_sleep 1
	s_wait_loadcnt_dscnt 0x0
	flat_load_b64 v[38:39], v[26:27] scope:SCOPE_SYS
	s_or_b32 s73, s73, exec_lo
	s_or_b32 s72, s72, exec_lo
                                        ; implicit-def: $vgpr2
	s_wait_xcnt 0x0
	s_and_saveexec_b32 s75, vcc_lo
	s_cbranch_execz .LBB6_1062
; %bb.1064:                             ;   in Loop: Header=BB6_1063 Depth=3
	s_cmp_lt_i32 s74, 0x270f
	s_mov_b32 s76, -1
	s_cselect_b32 s78, -1, 0
	s_cmp_gt_i32 s74, 0x270e
	s_cbranch_scc0 .LBB6_1066
; %bb.1065:                             ;   in Loop: Header=BB6_1063 Depth=3
	s_trap 2
	ds_load_b64 v[14:15], v9
	s_and_not1_b32 s74, s78, exec_lo
	s_mov_b32 s77, 0
	s_wait_storecnt 0x0
	s_wait_loadcnt_dscnt 0x0
	flat_load_b32 v2, v[14:15] scope:SCOPE_SYS
	s_wait_loadcnt_dscnt 0x0
	global_inv scope:SCOPE_SYS
	v_cmp_eq_u32_e64 s13, 0, v2
	s_and_b32 s13, s13, exec_lo
	s_delay_alu instid0(SALU_CYCLE_1)
	s_or_b32 s78, s74, s13
	s_mov_b32 s74, 0
	s_and_saveexec_b32 s79, s78
	s_cbranch_execz .LBB6_1061
	s_branch .LBB6_1060
.LBB6_1066:                             ;   in Loop: Header=BB6_1063 Depth=3
	s_add_co_i32 s74, s74, 1
	s_mov_b32 s77, -1
                                        ; implicit-def: $vgpr2
	s_and_saveexec_b32 s79, s78
	s_cbranch_execz .LBB6_1061
	s_branch .LBB6_1060
.LBB6_1067:                             ;   in Loop: Header=BB6_1055 Depth=2
	s_or_b32 exec_lo, exec_lo, s44
	s_xor_b32 s13, s45, -1
	s_delay_alu instid0(SALU_CYCLE_1) | instskip(NEXT) | instid1(SALU_CYCLE_1)
	s_and_saveexec_b32 s44, s13
	s_xor_b32 s13, exec_lo, s44
	s_cbranch_execz .LBB6_1069
; %bb.1068:                             ;   in Loop: Header=BB6_1055 Depth=2
	v_or_b32_e32 v30, 64, v30
	s_wait_storecnt 0x0
	s_wait_loadcnt_dscnt 0x0
	ds_store_b32 v9, v2
	s_trap 2
.LBB6_1069:                             ;   in Loop: Header=BB6_1055 Depth=2
	s_or_b32 exec_lo, exec_lo, s13
.LBB6_1070:                             ;   in Loop: Header=BB6_1055 Depth=2
	s_delay_alu instid0(SALU_CYCLE_1) | instskip(SKIP_3) | instid1(VALU_DEP_1)
	s_or_b32 exec_lo, exec_lo, s41
	v_and_b32_e32 v2, 0x100, v30
	s_mov_b32 s13, -1
	;;#ASMSTART
	s_wakeup
	;;#ASMEND
                                        ; implicit-def: $vgpr14_vgpr15
	v_cmp_ne_u32_e32 vcc_lo, 0, v2
	v_and_b32_e32 v2, 7, v112
	s_and_saveexec_b32 s41, vcc_lo
	s_cbranch_execz .LBB6_1074
; %bb.1071:                             ;   in Loop: Header=BB6_1055 Depth=2
	s_delay_alu instid0(VALU_DEP_1)
	v_mad_nc_u64_u32 v[16:17], v2, 24, v[6:7]
	s_mov_b32 s44, exec_lo
                                        ; implicit-def: $vgpr14_vgpr15
	flat_load_b32 v9, v[16:17]
	s_wait_loadcnt_dscnt 0x0
	v_cmp_ne_u32_e32 vcc_lo, 1, v9
	s_wait_xcnt 0x0
	v_cmpx_eq_u32_e32 1, v9
	s_cbranch_execz .LBB6_1073
; %bb.1072:                             ;   in Loop: Header=BB6_1055 Depth=2
	flat_load_b32 v14, v[16:17] offset:4 scope:SCOPE_SYS
	s_wait_loadcnt_dscnt 0x0
	v_ashrrev_i32_e32 v15, 31, v14
	s_delay_alu instid0(VALU_DEP_1)
	v_lshrrev_b64 v[14:15], 3, v[14:15]
.LBB6_1073:                             ;   in Loop: Header=BB6_1055 Depth=2
	s_wait_xcnt 0x0
	s_or_b32 exec_lo, exec_lo, s44
	s_delay_alu instid0(SALU_CYCLE_1)
	s_or_not1_b32 s13, vcc_lo, exec_lo
.LBB6_1074:                             ;   in Loop: Header=BB6_1055 Depth=2
	s_or_b32 exec_lo, exec_lo, s41
	s_and_saveexec_b32 s41, s13
; %bb.1075:                             ;   in Loop: Header=BB6_1055 Depth=2
	v_mul_u64_e32 v[14:15], v[2:3], v[28:29]
; %bb.1076:                             ;   in Loop: Header=BB6_1055 Depth=2
	s_or_b32 exec_lo, exec_lo, s41
	v_and_b32_e32 v2, 0x2000, v30
	s_delay_alu instid0(VALU_DEP_2)
	v_lshl_add_u64 v[14:15], v[14:15], 3, v[32:33]
	s_mov_b32 s13, exec_lo
	ds_store_b64 v0, v[14:15] offset:720
	v_cmpx_ne_u32_e32 0, v2
	s_cbranch_execz .LBB6_1078
; %bb.1077:                             ;   in Loop: Header=BB6_1055 Depth=2
	ds_load_b64 v[14:15], v0 offset:872
	s_wait_dscnt 0x0
	v_add_nc_u64_e32 v[14:15], 1, v[14:15]
	ds_store_b64 v0, v[14:15] offset:872
.LBB6_1078:                             ;   in Loop: Header=BB6_1055 Depth=2
	s_or_b32 exec_lo, exec_lo, s13
	v_mov_b64_e32 v[112:113], v[12:13]
.LBB6_1079:                             ;   in Loop: Header=BB6_1055 Depth=2
	s_or_b32 exec_lo, exec_lo, s20
	s_and_saveexec_b32 s13, s2
	s_cbranch_execz .LBB6_1098
; %bb.1080:                             ;   in Loop: Header=BB6_1055 Depth=2
	s_and_saveexec_b32 s20, s3
	s_delay_alu instid0(SALU_CYCLE_1)
	s_xor_b32 s20, exec_lo, s20
	s_cbranch_execz .LBB6_1095
; %bb.1081:                             ;   in Loop: Header=BB6_1055 Depth=2
	s_and_saveexec_b32 s41, s6
	s_cbranch_execz .LBB6_1094
; %bb.1082:                             ;   in Loop: Header=BB6_1055 Depth=2
	s_mov_b32 s45, exec_lo
	s_mov_b32 s44, exec_lo
	v_mbcnt_lo_u32_b32 v2, s45, 0
	global_wb scope:SCOPE_DEV
	s_wait_storecnt 0x0
	s_wait_loadcnt_dscnt 0x0
	global_inv scope:SCOPE_DEV
	v_cmpx_eq_u32_e32 0, v2
	s_cbranch_execz .LBB6_1084
; %bb.1083:                             ;   in Loop: Header=BB6_1055 Depth=2
	s_bcnt1_i32_b32 s45, s45
	s_delay_alu instid0(SALU_CYCLE_1)
	v_mov_b32_e32 v2, s45
	s_wait_loadcnt 0x0
	ds_add_u64 v2, v[2:3]
	s_trap 2
.LBB6_1084:                             ;   in Loop: Header=BB6_1055 Depth=2
	s_or_b32 exec_lo, exec_lo, s44
	s_trap 2
	ds_load_b64 v[12:13], v2
	s_wait_dscnt 0x0
	v_add_nc_u64_e32 v[36:37], v[36:37], v[48:49]
	s_mov_b32 s44, exec_lo
	s_delay_alu instid0(VALU_DEP_1)
	v_cmpx_lt_u64_e64 v[12:13], v[36:37]
	s_cbranch_execz .LBB6_1093
; %bb.1085:                             ;   in Loop: Header=BB6_1055 Depth=2
	s_mov_b32 s45, 0
	s_mov_b32 s74, 0
                                        ; implicit-def: $sgpr72
                                        ; implicit-def: $sgpr73
	s_branch .LBB6_1087
.LBB6_1086:                             ;   in Loop: Header=BB6_1087 Depth=3
	s_or_b32 exec_lo, exec_lo, s76
	s_delay_alu instid0(SALU_CYCLE_1) | instskip(NEXT) | instid1(SALU_CYCLE_1)
	s_and_b32 s75, exec_lo, s77
	s_or_b32 s45, s75, s45
	s_and_not1_b32 s72, s72, exec_lo
	s_and_b32 s75, s73, exec_lo
	s_delay_alu instid0(SALU_CYCLE_1)
	s_or_b32 s72, s72, s75
	s_and_not1_b32 exec_lo, exec_lo, s45
	s_cbranch_execz .LBB6_1091
.LBB6_1087:                             ;   Parent Loop BB6_47 Depth=1
                                        ;     Parent Loop BB6_1055 Depth=2
                                        ; =>    This Inner Loop Header: Depth=3
	s_add_co_i32 s74, s74, 1
	s_delay_alu instid0(SALU_CYCLE_1) | instskip(SKIP_1) | instid1(SALU_CYCLE_1)
	s_cmp_lg_u32 s74, 0x2710
	s_cselect_b32 s75, -1, 0
	s_and_b32 vcc_lo, exec_lo, s75
	s_cbranch_vccz .LBB6_1089
; %bb.1088:                             ;   in Loop: Header=BB6_1087 Depth=3
	s_mov_b32 s77, -1
	s_or_b32 s73, s73, exec_lo
	s_and_saveexec_b32 s76, s75
	s_cbranch_execz .LBB6_1086
	s_branch .LBB6_1090
.LBB6_1089:                             ;   in Loop: Header=BB6_1087 Depth=3
	s_trap 2
	ds_load_b64 v[12:13], v2
	s_and_not1_b32 s75, s75, exec_lo
	s_mov_b32 s74, 0
	s_wait_loadcnt_dscnt 0x0
	flat_load_b32 v2, v[12:13] scope:SCOPE_SYS
	s_wait_loadcnt_dscnt 0x0
	global_inv scope:SCOPE_SYS
	v_cmp_eq_u32_e32 vcc_lo, 0, v2
	s_and_b32 s76, vcc_lo, exec_lo
	s_delay_alu instid0(SALU_CYCLE_1)
	s_or_b32 s75, s75, s76
	s_mov_b32 s77, -1
	s_or_b32 s73, s73, exec_lo
	s_and_saveexec_b32 s76, s75
	s_cbranch_execz .LBB6_1086
.LBB6_1090:                             ;   in Loop: Header=BB6_1087 Depth=3
	s_sleep 1
	s_trap 2
	ds_load_b64 v[12:13], v2
	s_wait_dscnt 0x0
	s_and_not1_b32 s73, s73, exec_lo
	v_cmp_ge_u64_e32 vcc_lo, v[12:13], v[36:37]
	s_or_not1_b32 s77, vcc_lo, exec_lo
	s_branch .LBB6_1086
.LBB6_1091:                             ;   in Loop: Header=BB6_1055 Depth=2
	s_or_b32 exec_lo, exec_lo, s45
	s_and_saveexec_b32 s45, s72
	s_delay_alu instid0(SALU_CYCLE_1)
	s_xor_b32 s45, exec_lo, s45
	s_cbranch_execz .LBB6_1093
; %bb.1092:                             ;   in Loop: Header=BB6_1055 Depth=2
	ds_store_b32 v2, v121
	s_trap 2
.LBB6_1093:                             ;   in Loop: Header=BB6_1055 Depth=2
	s_or_b32 exec_lo, exec_lo, s44
	;;#ASMSTART
	s_wakeup
	;;#ASMEND
.LBB6_1094:                             ;   in Loop: Header=BB6_1055 Depth=2
	s_or_b32 exec_lo, exec_lo, s41
.LBB6_1095:                             ;   in Loop: Header=BB6_1055 Depth=2
	s_and_not1_saveexec_b32 s20, s20
	s_cbranch_execz .LBB6_1097
; %bb.1096:                             ;   in Loop: Header=BB6_1055 Depth=2
	global_wb scope:SCOPE_DEV
	s_wait_storecnt 0x0
	s_wait_loadcnt_dscnt 0x0
	global_inv scope:SCOPE_DEV
	s_barrier_signal -1
	s_barrier_wait -1
.LBB6_1097:                             ;   in Loop: Header=BB6_1055 Depth=2
	s_or_b32 exec_lo, exec_lo, s20
.LBB6_1098:                             ;   in Loop: Header=BB6_1055 Depth=2
	s_delay_alu instid0(SALU_CYCLE_1) | instskip(SKIP_4) | instid1(VALU_DEP_1)
	s_or_b32 exec_lo, exec_lo, s13
	s_trap 2
	ds_load_b32 v9, v2
	v_and_b32_e32 v2, 0x4000, v30
	s_xor_b32 s13, s1, -1
	v_cmp_ne_u32_e32 vcc_lo, 0, v2
	s_and_b32 s20, s13, vcc_lo
	s_delay_alu instid0(SALU_CYCLE_1)
	s_and_saveexec_b32 s13, s20
	s_cbranch_execz .LBB6_1117
; %bb.1099:                             ;   in Loop: Header=BB6_1055 Depth=2
	s_and_saveexec_b32 s20, s3
	s_delay_alu instid0(SALU_CYCLE_1)
	s_xor_b32 s20, exec_lo, s20
	s_cbranch_execz .LBB6_1114
; %bb.1100:                             ;   in Loop: Header=BB6_1055 Depth=2
	s_and_saveexec_b32 s41, s6
	s_cbranch_execz .LBB6_1113
; %bb.1101:                             ;   in Loop: Header=BB6_1055 Depth=2
	s_mov_b32 s45, exec_lo
	s_mov_b32 s44, exec_lo
	v_mbcnt_lo_u32_b32 v2, s45, 0
	global_wb scope:SCOPE_DEV
	s_wait_storecnt 0x0
	s_wait_loadcnt_dscnt 0x0
	global_inv scope:SCOPE_DEV
	v_cmpx_eq_u32_e32 0, v2
	s_cbranch_execz .LBB6_1103
; %bb.1102:                             ;   in Loop: Header=BB6_1055 Depth=2
	s_bcnt1_i32_b32 s45, s45
	s_delay_alu instid0(SALU_CYCLE_1)
	v_mov_b32_e32 v2, s45
	s_wait_loadcnt 0x0
	ds_add_u64 v2, v[2:3]
	s_trap 2
.LBB6_1103:                             ;   in Loop: Header=BB6_1055 Depth=2
	s_or_b32 exec_lo, exec_lo, s44
	s_trap 2
	ds_load_b64 v[12:13], v2
	s_wait_dscnt 0x0
	v_add_nc_u64_e32 v[36:37], v[36:37], v[48:49]
	s_mov_b32 s44, exec_lo
	s_delay_alu instid0(VALU_DEP_1)
	v_cmpx_lt_u64_e64 v[12:13], v[36:37]
	s_cbranch_execz .LBB6_1112
; %bb.1104:                             ;   in Loop: Header=BB6_1055 Depth=2
	s_mov_b32 s45, 0
	s_mov_b32 s74, 0
                                        ; implicit-def: $sgpr72
                                        ; implicit-def: $sgpr73
	s_branch .LBB6_1106
.LBB6_1105:                             ;   in Loop: Header=BB6_1106 Depth=3
	s_or_b32 exec_lo, exec_lo, s76
	s_delay_alu instid0(SALU_CYCLE_1) | instskip(NEXT) | instid1(SALU_CYCLE_1)
	s_and_b32 s75, exec_lo, s77
	s_or_b32 s45, s75, s45
	s_and_not1_b32 s72, s72, exec_lo
	s_and_b32 s75, s73, exec_lo
	s_delay_alu instid0(SALU_CYCLE_1)
	s_or_b32 s72, s72, s75
	s_and_not1_b32 exec_lo, exec_lo, s45
	s_cbranch_execz .LBB6_1110
.LBB6_1106:                             ;   Parent Loop BB6_47 Depth=1
                                        ;     Parent Loop BB6_1055 Depth=2
                                        ; =>    This Inner Loop Header: Depth=3
	s_add_co_i32 s74, s74, 1
	s_delay_alu instid0(SALU_CYCLE_1) | instskip(SKIP_1) | instid1(SALU_CYCLE_1)
	s_cmp_lg_u32 s74, 0x2710
	s_cselect_b32 s75, -1, 0
	s_and_b32 vcc_lo, exec_lo, s75
	s_cbranch_vccz .LBB6_1108
; %bb.1107:                             ;   in Loop: Header=BB6_1106 Depth=3
	s_mov_b32 s77, -1
	s_or_b32 s73, s73, exec_lo
	s_and_saveexec_b32 s76, s75
	s_cbranch_execz .LBB6_1105
	s_branch .LBB6_1109
.LBB6_1108:                             ;   in Loop: Header=BB6_1106 Depth=3
	s_trap 2
	ds_load_b64 v[12:13], v2
	s_and_not1_b32 s75, s75, exec_lo
	s_mov_b32 s74, 0
	s_wait_loadcnt_dscnt 0x0
	flat_load_b32 v2, v[12:13] scope:SCOPE_SYS
	s_wait_loadcnt_dscnt 0x0
	global_inv scope:SCOPE_SYS
	v_cmp_eq_u32_e32 vcc_lo, 0, v2
	s_and_b32 s76, vcc_lo, exec_lo
	s_delay_alu instid0(SALU_CYCLE_1)
	s_or_b32 s75, s75, s76
	s_mov_b32 s77, -1
	s_or_b32 s73, s73, exec_lo
	s_and_saveexec_b32 s76, s75
	s_cbranch_execz .LBB6_1105
.LBB6_1109:                             ;   in Loop: Header=BB6_1106 Depth=3
	s_sleep 1
	s_trap 2
	ds_load_b64 v[12:13], v2
	s_wait_dscnt 0x0
	s_and_not1_b32 s73, s73, exec_lo
	v_cmp_ge_u64_e32 vcc_lo, v[12:13], v[36:37]
	s_or_not1_b32 s77, vcc_lo, exec_lo
	s_branch .LBB6_1105
.LBB6_1110:                             ;   in Loop: Header=BB6_1055 Depth=2
	s_or_b32 exec_lo, exec_lo, s45
	s_and_saveexec_b32 s45, s72
	s_delay_alu instid0(SALU_CYCLE_1)
	s_xor_b32 s45, exec_lo, s45
	s_cbranch_execz .LBB6_1112
; %bb.1111:                             ;   in Loop: Header=BB6_1055 Depth=2
	ds_store_b32 v2, v121
	s_trap 2
.LBB6_1112:                             ;   in Loop: Header=BB6_1055 Depth=2
	s_or_b32 exec_lo, exec_lo, s44
	;;#ASMSTART
	s_wakeup
	;;#ASMEND
.LBB6_1113:                             ;   in Loop: Header=BB6_1055 Depth=2
	s_or_b32 exec_lo, exec_lo, s41
.LBB6_1114:                             ;   in Loop: Header=BB6_1055 Depth=2
	s_and_not1_saveexec_b32 s20, s20
	s_cbranch_execz .LBB6_1116
; %bb.1115:                             ;   in Loop: Header=BB6_1055 Depth=2
	global_wb scope:SCOPE_DEV
	s_wait_storecnt 0x0
	s_wait_loadcnt_dscnt 0x0
	global_inv scope:SCOPE_DEV
	s_barrier_signal -1
	s_barrier_wait -1
.LBB6_1116:                             ;   in Loop: Header=BB6_1055 Depth=2
	s_or_b32 exec_lo, exec_lo, s20
.LBB6_1117:                             ;   in Loop: Header=BB6_1055 Depth=2
	s_delay_alu instid0(SALU_CYCLE_1) | instskip(SKIP_3) | instid1(VALU_DEP_1)
	s_or_b32 exec_lo, exec_lo, s13
	s_trap 2
	ds_load_b64 v[12:13], v2
	v_sub_nc_u32_e32 v2, v22, v8
	v_min_i32_e32 v23, v23, v2
	s_wait_dscnt 0x0
	v_cmp_eq_u64_e32 vcc_lo, 0, v[12:13]
	s_cbranch_vccnz .LBB6_1125
; %bb.1118:                             ;   in Loop: Header=BB6_1055 Depth=2
	s_trap 2
	ds_load_b64 v[14:15], v2
	s_wait_dscnt 0x0
	v_cmp_eq_u64_e32 vcc_lo, 0, v[14:15]
	s_cbranch_vccnz .LBB6_1125
; %bb.1119:                             ;   in Loop: Header=BB6_1055 Depth=2
	s_mov_b32 s13, -1
	s_and_saveexec_b32 s20, s10
	s_cbranch_execz .LBB6_1121
; %bb.1120:                             ;   in Loop: Header=BB6_1055 Depth=2
	ds_load_b32 v2, v0 offset:720
	s_wait_dscnt 0x0
	v_and_b32_e32 v2, 15, v2
	s_delay_alu instid0(VALU_DEP_1)
	v_cmp_eq_u32_e32 vcc_lo, 0, v2
	s_or_not1_b32 s13, vcc_lo, exec_lo
.LBB6_1121:                             ;   in Loop: Header=BB6_1055 Depth=2
	s_or_b32 exec_lo, exec_lo, s20
	s_and_saveexec_b32 s20, s7
	s_cbranch_execz .LBB6_1123
; %bb.1122:                             ;   in Loop: Header=BB6_1055 Depth=2
	ds_load_b32 v2, v0 offset:784
	s_wait_dscnt 0x0
	v_and_b32_e32 v2, 15, v2
	s_delay_alu instid0(VALU_DEP_1) | instskip(SKIP_3) | instid1(SALU_CYCLE_1)
	v_cmp_eq_u32_e32 vcc_lo, 0, v2
	s_and_b32 s41, s13, vcc_lo
	s_and_not1_b32 s13, s13, exec_lo
	s_and_b32 s41, s41, exec_lo
	s_or_b32 s13, s13, s41
.LBB6_1123:                             ;   in Loop: Header=BB6_1055 Depth=2
	s_or_b32 exec_lo, exec_lo, s20
	v_cmp_eq_u32_e32 vcc_lo, 0, v9
	s_xor_b32 s13, s13, -1
	s_mov_b32 s41, -1
	v_cndmask_b32_e64 v16, 0, 1, s13
	v_dual_mov_b32 v116, 0 :: v_dual_cndmask_b32 v2, 0, v23, vcc_lo
	s_delay_alu instid0(VALU_DEP_2) | instskip(NEXT) | instid1(VALU_DEP_2)
	v_cmp_ne_u32_e32 vcc_lo, 0, v16
	v_lshlrev_b32_e32 v9, 3, v2
	s_cbranch_vccz .LBB6_1130
; %bb.1124:                             ;   in Loop: Header=BB6_1055 Depth=2
	v_mov_b32_e32 v117, v0
	s_and_saveexec_b32 s13, s41
	s_cbranch_execnz .LBB6_1141
	s_branch .LBB6_1149
.LBB6_1125:                             ;   in Loop: Header=BB6_1055 Depth=2
	s_mov_b32 s13, 0
	s_and_saveexec_b32 s20, s2
	s_cbranch_execnz .LBB6_1150
.LBB6_1126:                             ;   in Loop: Header=BB6_1055 Depth=2
	s_or_b32 exec_lo, exec_lo, s20
	s_and_saveexec_b32 s20, s12
	s_delay_alu instid0(SALU_CYCLE_1)
	s_xor_b32 s20, exec_lo, s20
	s_cbranch_execz .LBB6_1168
.LBB6_1127:                             ;   in Loop: Header=BB6_1055 Depth=2
	v_and_b32_e32 v2, 16, v30
	s_delay_alu instid0(VALU_DEP_1) | instskip(SKIP_1) | instid1(SALU_CYCLE_1)
	v_cmp_ne_u32_e32 vcc_lo, 0, v2
	s_and_b32 s41, vcc_lo, s13
	s_and_saveexec_b32 s13, s41
	s_cbranch_execz .LBB6_1129
; %bb.1128:                             ;   in Loop: Header=BB6_1055 Depth=2
	global_wb scope:SCOPE_SYS
	s_wait_storecnt 0x0
	s_wait_loadcnt_dscnt 0x0
	global_inv scope:SCOPE_SYS
.LBB6_1129:                             ;   in Loop: Header=BB6_1055 Depth=2
	s_or_b32 exec_lo, exec_lo, s13
	s_and_not1_saveexec_b32 s13, s20
	s_cbranch_execz .LBB6_1187
	s_branch .LBB6_1169
.LBB6_1130:                             ;   in Loop: Header=BB6_1055 Depth=2
	s_delay_alu instid0(VALU_DEP_1) | instskip(SKIP_1) | instid1(VALU_DEP_1)
	v_ashrrev_i32_e32 v16, 31, v9
	s_mov_b32 s13, exec_lo
	v_lshrrev_b32_e32 v16, 20, v16
	s_delay_alu instid0(VALU_DEP_1) | instskip(NEXT) | instid1(VALU_DEP_1)
	v_add_nc_u32_e32 v16, v9, v16
	v_ashrrev_i32_e32 v115, 12, v16
	s_delay_alu instid0(VALU_DEP_1) | instskip(NEXT) | instid1(VALU_DEP_1)
	v_sub_nc_u32_e32 v114, v115, v120
	v_cmpx_lt_i32_e32 0, v114
	s_cbranch_execz .LBB6_1134
; %bb.1131:                             ;   in Loop: Header=BB6_1055 Depth=2
	v_mov_b64_e32 v[16:17], v[14:15]
	v_mov_b64_e32 v[18:19], v[12:13]
	s_mov_b32 s20, 0
.LBB6_1132:                             ;   Parent Loop BB6_47 Depth=1
                                        ;     Parent Loop BB6_1055 Depth=2
                                        ; =>    This Inner Loop Header: Depth=3
	s_delay_alu instid0(VALU_DEP_1) | instskip(SKIP_1) | instid1(VALU_DEP_4)
	v_add_nc_u64_e32 v[76:77], v[84:85], v[18:19]
	v_sub_nc_u32_e32 v114, v114, v48
	v_add_nc_u64_e32 v[88:89], v[84:85], v[16:17]
	v_add_nc_u64_e32 v[18:19], v[18:19], v[64:65]
	;; [unrolled: 1-line block ×3, first 2 shown]
	s_clause 0x7
	global_load_b128 v[52:55], v[76:77], off th:TH_LOAD_NT
	global_load_b128 v[116:119], v[76:77], off offset:512 th:TH_LOAD_NT
	global_load_b128 v[40:43], v[76:77], off offset:1024 th:TH_LOAD_NT
	;; [unrolled: 1-line block ×7, first 2 shown]
	v_cmp_gt_i32_e32 vcc_lo, 1, v114
	s_wait_loadcnt 0x7
	global_store_b128 v[88:89], v[52:55], off th:TH_STORE_NT
	s_wait_loadcnt 0x6
	global_store_b128 v[88:89], v[116:119], off offset:512 th:TH_STORE_NT
	s_wait_loadcnt 0x5
	global_store_b128 v[88:89], v[40:43], off offset:1024 th:TH_STORE_NT
	;; [unrolled: 2-line block ×7, first 2 shown]
	s_or_b32 s20, vcc_lo, s20
	s_wait_xcnt 0x0
	s_and_not1_b32 exec_lo, exec_lo, s20
	s_cbranch_execnz .LBB6_1132
; %bb.1133:                             ;   in Loop: Header=BB6_1055 Depth=2
	s_or_b32 exec_lo, exec_lo, s20
.LBB6_1134:                             ;   in Loop: Header=BB6_1055 Depth=2
	s_delay_alu instid0(SALU_CYCLE_1) | instskip(SKIP_3) | instid1(VALU_DEP_1)
	s_or_b32 exec_lo, exec_lo, s13
	v_dual_lshlrev_b32 v18, 12, v115 :: v_dual_mov_b32 v116, 0
	s_mov_b32 s41, 0
	s_mov_b32 s20, exec_lo
                                        ; implicit-def: $vgpr117
	v_cmpx_ne_u32_e64 v9, v18
	s_cbranch_execz .LBB6_1140
; %bb.1135:                             ;   in Loop: Header=BB6_1055 Depth=2
	v_lshlrev_b32_e32 v16, 5, v114
	s_mov_b32 s41, exec_lo
	s_delay_alu instid0(VALU_DEP_1) | instskip(NEXT) | instid1(VALU_DEP_1)
	v_dual_sub_nc_u32 v21, v9, v18 :: v_dual_sub_nc_u32 v16, v20, v16
	v_dual_ashrrev_i32 v19, 31, v21 :: v_dual_ashrrev_i32 v17, 31, v16
	s_delay_alu instid0(VALU_DEP_1) | instskip(NEXT) | instid1(VALU_DEP_1)
	v_dual_lshrrev_b32 v19, 23, v19 :: v_dual_lshrrev_b32 v17, 27, v17
	v_add_nc_u32_e32 v17, v16, v17
	s_delay_alu instid0(VALU_DEP_1) | instskip(NEXT) | instid1(VALU_DEP_1)
	v_and_b32_e32 v52, 0xffffffe0, v17
	v_dual_add_nc_u32 v53, v21, v19 :: v_dual_sub_nc_u32 v19, v16, v52
	s_delay_alu instid0(VALU_DEP_1) | instskip(SKIP_1) | instid1(VALU_DEP_3)
	v_and_b32_e32 v114, 0xfffffe00, v53
	v_ashrrev_i32_e32 v17, 5, v17
	v_dual_ashrrev_i32 v52, 9, v53 :: v_dual_lshlrev_b32 v16, 4, v19
	s_delay_alu instid0(VALU_DEP_3) | instskip(NEXT) | instid1(VALU_DEP_2)
	v_sub_nc_u32_e32 v115, v21, v114
	v_lshl_add_u32 v16, v17, 9, v16
	s_delay_alu instid0(VALU_DEP_2) | instskip(NEXT) | instid1(VALU_DEP_4)
	v_cmp_lt_i32_e32 vcc_lo, 15, v115
	v_add_co_ci_u32_e64 v52, null, 0, v52, vcc_lo
	s_delay_alu instid0(VALU_DEP_1) | instskip(NEXT) | instid1(VALU_DEP_1)
	v_dual_sub_nc_u32 v117, v21, v16 :: v_dual_sub_nc_u32 v116, v52, v17
	v_cmpx_lt_i32_e32 15, v117
	s_cbranch_execz .LBB6_1139
; %bb.1136:                             ;   in Loop: Header=BB6_1055 Depth=2
	v_add_nc_u32_e32 v16, v16, v18
	s_mov_b32 s44, 0
	s_delay_alu instid0(VALU_DEP_1)
	v_ashrrev_i32_e32 v17, 31, v16
.LBB6_1137:                             ;   Parent Loop BB6_47 Depth=1
                                        ;     Parent Loop BB6_1055 Depth=2
                                        ; =>    This Inner Loop Header: Depth=3
	s_delay_alu instid0(VALU_DEP_1) | instskip(SKIP_3) | instid1(VALU_DEP_3)
	v_add_nc_u64_e32 v[52:53], v[12:13], v[16:17]
	v_dual_sub_nc_u32 v117, v117, v66 :: v_dual_sub_nc_u32 v116, v116, v48
	v_add_nc_u64_e32 v[118:119], v[14:15], v[16:17]
	v_add_nc_u64_e32 v[16:17], v[16:17], v[66:67]
	v_cmp_gt_i32_e64 s13, 16, v117
	global_load_b128 v[52:55], v[52:53], off th:TH_LOAD_NT
	s_or_b32 s44, s13, s44
	s_wait_loadcnt 0x0
	global_store_b128 v[118:119], v[52:55], off th:TH_STORE_NT
	s_wait_xcnt 0x0
	s_and_not1_b32 exec_lo, exec_lo, s44
	s_cbranch_execnz .LBB6_1137
; %bb.1138:                             ;   in Loop: Header=BB6_1055 Depth=2
	s_or_b32 exec_lo, exec_lo, s44
.LBB6_1139:                             ;   in Loop: Header=BB6_1055 Depth=2
	s_delay_alu instid0(SALU_CYCLE_1) | instskip(NEXT) | instid1(VALU_DEP_2)
	s_or_b32 exec_lo, exec_lo, s41
	v_cmp_lt_i32_e64 s13, 0, v116
	s_delay_alu instid0(VALU_DEP_1) | instskip(NEXT) | instid1(VALU_DEP_1)
	v_dual_cndmask_b32 v17, 0, v48, s13 :: v_dual_bitop2_b32 v9, 8, v9 bitop3:0x40
	v_dual_cndmask_b32 v9, v115, v9 :: v_dual_sub_nc_u32 v16, v115, v9
	s_delay_alu instid0(VALU_DEP_2) | instskip(NEXT) | instid1(VALU_DEP_2)
	v_sub_nc_u32_e32 v17, v17, v116
	v_cndmask_b32_e32 v16, 0, v16, vcc_lo
	s_delay_alu instid0(VALU_DEP_3) | instskip(NEXT) | instid1(VALU_DEP_3)
	v_cmp_ne_u32_e32 vcc_lo, 0, v9
	v_lshl_add_u32 v117, v17, 5, v19
	s_delay_alu instid0(VALU_DEP_3)
	v_add3_u32 v116, v114, v18, v16
	s_and_b32 s41, vcc_lo, exec_lo
.LBB6_1140:                             ;   in Loop: Header=BB6_1055 Depth=2
	s_or_b32 exec_lo, exec_lo, s20
	s_and_saveexec_b32 s13, s41
	s_cbranch_execz .LBB6_1149
.LBB6_1141:                             ;   in Loop: Header=BB6_1055 Depth=2
	v_ashrrev_i32_e32 v17, 31, v9
	s_mov_b32 s20, exec_lo
	s_delay_alu instid0(VALU_DEP_1) | instskip(NEXT) | instid1(VALU_DEP_1)
	v_lshrrev_b32_e32 v17, 22, v17
	v_add_nc_u32_e32 v17, v9, v17
	s_delay_alu instid0(VALU_DEP_1) | instskip(SKIP_1) | instid1(VALU_DEP_1)
	v_ashrrev_i32_e32 v40, 10, v17
	v_ashrrev_i32_e32 v16, 31, v117
	v_lshrrev_b32_e32 v16, 27, v16
	s_delay_alu instid0(VALU_DEP_1) | instskip(NEXT) | instid1(VALU_DEP_1)
	v_add_nc_u32_e32 v16, v117, v16
	v_ashrrev_i32_e32 v118, 5, v16
	s_delay_alu instid0(VALU_DEP_1) | instskip(NEXT) | instid1(VALU_DEP_1)
	v_sub_nc_u32_e32 v119, v40, v118
	v_cmpx_lt_i32_e32 0, v119
	s_cbranch_execz .LBB6_1145
; %bb.1142:                             ;   in Loop: Header=BB6_1055 Depth=2
	v_and_b32_e32 v16, 0x1fffffe0, v16
	v_mov_b64_e32 v[18:19], v[14:15]
	v_mov_b64_e32 v[114:115], v[12:13]
	s_mov_b32 s41, 0
	s_delay_alu instid0(VALU_DEP_3) | instskip(NEXT) | instid1(VALU_DEP_1)
	v_dual_lshlrev_b32 v17, 10, v118 :: v_dual_sub_nc_u32 v16, v117, v16
	v_lshlrev_b32_e32 v16, 3, v16
	s_delay_alu instid0(VALU_DEP_1) | instskip(NEXT) | instid1(VALU_DEP_1)
	v_add3_u32 v16, v16, v116, v17
	v_ashrrev_i32_e32 v17, 31, v16
.LBB6_1143:                             ;   Parent Loop BB6_47 Depth=1
                                        ;     Parent Loop BB6_1055 Depth=2
                                        ; =>    This Inner Loop Header: Depth=3
	s_delay_alu instid0(VALU_DEP_1)
	v_add_nc_u64_e32 v[52:53], v[16:17], v[114:115]
	v_sub_nc_u32_e32 v119, v119, v48
	v_add_nc_u64_e32 v[46:47], v[16:17], v[18:19]
	v_add_nc_u64_e32 v[114:115], v[114:115], v[68:69]
	;; [unrolled: 1-line block ×3, first 2 shown]
	s_clause 0x3
	flat_load_b64 v[54:55], v[52:53] th:TH_LOAD_NT
	flat_load_b64 v[42:43], v[52:53] offset:256 th:TH_LOAD_NT
	flat_load_b64 v[44:45], v[52:53] offset:512 th:TH_LOAD_NT
	;; [unrolled: 1-line block ×3, first 2 shown]
	v_cmp_gt_i32_e32 vcc_lo, 1, v119
	s_wait_loadcnt_dscnt 0x303
	flat_store_b64 v[46:47], v[54:55] th:TH_STORE_NT
	s_wait_loadcnt_dscnt 0x203
	flat_store_b64 v[46:47], v[42:43] offset:256 th:TH_STORE_NT
	s_wait_loadcnt_dscnt 0x103
	flat_store_b64 v[46:47], v[44:45] offset:512 th:TH_STORE_NT
	;; [unrolled: 2-line block ×3, first 2 shown]
	s_or_b32 s41, vcc_lo, s41
	s_wait_xcnt 0x0
	s_and_not1_b32 exec_lo, exec_lo, s41
	s_cbranch_execnz .LBB6_1143
; %bb.1144:                             ;   in Loop: Header=BB6_1055 Depth=2
	s_or_b32 exec_lo, exec_lo, s41
.LBB6_1145:                             ;   in Loop: Header=BB6_1055 Depth=2
	s_delay_alu instid0(SALU_CYCLE_1) | instskip(SKIP_1) | instid1(VALU_DEP_1)
	s_or_b32 exec_lo, exec_lo, s20
	v_lshlrev_b32_e32 v16, 10, v40
	v_cmp_ne_u32_e32 vcc_lo, v9, v16
	s_and_b32 exec_lo, exec_lo, vcc_lo
	s_cbranch_execz .LBB6_1149
; %bb.1146:                             ;   in Loop: Header=BB6_1055 Depth=2
	v_dual_lshlrev_b32 v17, 5, v118 :: v_dual_lshlrev_b32 v18, 5, v119
	s_delay_alu instid0(VALU_DEP_1) | instskip(NEXT) | instid1(VALU_DEP_1)
	v_sub_nc_u32_e32 v17, v117, v17
	v_sub_nc_u32_e32 v17, v17, v18
	s_delay_alu instid0(VALU_DEP_1) | instskip(NEXT) | instid1(VALU_DEP_1)
	v_ashrrev_i32_e32 v18, 31, v17
	v_lshrrev_b32_e32 v18, 27, v18
	s_delay_alu instid0(VALU_DEP_1) | instskip(NEXT) | instid1(VALU_DEP_1)
	v_add_nc_u32_e32 v18, v17, v18
	v_and_b32_e32 v19, 0x1fffffe0, v18
	s_delay_alu instid0(VALU_DEP_1) | instskip(NEXT) | instid1(VALU_DEP_1)
	v_dual_lshlrev_b32 v18, 3, v18 :: v_dual_sub_nc_u32 v17, v17, v19
	v_and_b32_e32 v18, 0xffffff00, v18
	s_delay_alu instid0(VALU_DEP_2) | instskip(NEXT) | instid1(VALU_DEP_1)
	v_lshlrev_b32_e32 v17, 3, v17
	v_add3_u32 v16, v18, v17, v16
	s_delay_alu instid0(VALU_DEP_1) | instskip(NEXT) | instid1(VALU_DEP_1)
	v_sub_nc_u32_e32 v9, v9, v16
	v_cmp_lt_i32_e32 vcc_lo, 7, v9
	s_and_b32 exec_lo, exec_lo, vcc_lo
	s_cbranch_execz .LBB6_1149
; %bb.1147:                             ;   in Loop: Header=BB6_1055 Depth=2
	v_add_nc_u32_e32 v16, v16, v116
	s_mov_b32 s20, 0
	s_delay_alu instid0(VALU_DEP_1)
	v_ashrrev_i32_e32 v17, 31, v16
.LBB6_1148:                             ;   Parent Loop BB6_47 Depth=1
                                        ;     Parent Loop BB6_1055 Depth=2
                                        ; =>    This Inner Loop Header: Depth=3
	s_delay_alu instid0(VALU_DEP_1) | instskip(SKIP_3) | instid1(VALU_DEP_3)
	v_add_nc_u64_e32 v[18:19], v[12:13], v[16:17]
	v_sub_nc_u32_e32 v9, v9, v70
	v_add_nc_u64_e32 v[52:53], v[14:15], v[16:17]
	v_add_nc_u64_e32 v[16:17], v[16:17], v[70:71]
	v_cmp_gt_i32_e32 vcc_lo, 8, v9
	flat_load_b64 v[18:19], v[18:19] th:TH_LOAD_NT
	s_or_b32 s20, vcc_lo, s20
	s_wait_loadcnt_dscnt 0x0
	flat_store_b64 v[52:53], v[18:19] th:TH_STORE_NT
	s_wait_xcnt 0x0
	s_and_not1_b32 exec_lo, exec_lo, s20
	s_cbranch_execnz .LBB6_1148
.LBB6_1149:                             ;   in Loop: Header=BB6_1055 Depth=2
	s_or_b32 exec_lo, exec_lo, s13
	v_cmp_lt_i32_e64 s13, 0, v2
	s_and_saveexec_b32 s20, s2
	s_cbranch_execz .LBB6_1126
.LBB6_1150:                             ;   in Loop: Header=BB6_1055 Depth=2
	s_and_saveexec_b32 s41, s3
	s_delay_alu instid0(SALU_CYCLE_1)
	s_xor_b32 s41, exec_lo, s41
	s_cbranch_execz .LBB6_1165
; %bb.1151:                             ;   in Loop: Header=BB6_1055 Depth=2
	s_and_saveexec_b32 s44, s6
	s_cbranch_execz .LBB6_1164
; %bb.1152:                             ;   in Loop: Header=BB6_1055 Depth=2
	s_mov_b32 s72, exec_lo
	s_mov_b32 s45, exec_lo
	v_mbcnt_lo_u32_b32 v2, s72, 0
	global_wb scope:SCOPE_DEV
	s_wait_storecnt 0x0
	s_wait_loadcnt_dscnt 0x0
	global_inv scope:SCOPE_DEV
	v_cmpx_eq_u32_e32 0, v2
	s_cbranch_execz .LBB6_1154
; %bb.1153:                             ;   in Loop: Header=BB6_1055 Depth=2
	s_bcnt1_i32_b32 s72, s72
	s_delay_alu instid0(SALU_CYCLE_1)
	v_mov_b32_e32 v2, s72
	s_wait_loadcnt 0x0
	ds_add_u64 v2, v[2:3]
	s_trap 2
.LBB6_1154:                             ;   in Loop: Header=BB6_1055 Depth=2
	s_or_b32 exec_lo, exec_lo, s45
	s_trap 2
	ds_load_b64 v[12:13], v2
	s_wait_dscnt 0x0
	v_add_nc_u64_e32 v[36:37], v[36:37], v[48:49]
	s_mov_b32 s45, exec_lo
	s_delay_alu instid0(VALU_DEP_1)
	v_cmpx_lt_u64_e64 v[12:13], v[36:37]
	s_cbranch_execz .LBB6_1163
; %bb.1155:                             ;   in Loop: Header=BB6_1055 Depth=2
	s_mov_b32 s72, 0
	s_mov_b32 s75, 0
                                        ; implicit-def: $sgpr73
                                        ; implicit-def: $sgpr74
	s_branch .LBB6_1157
.LBB6_1156:                             ;   in Loop: Header=BB6_1157 Depth=3
	s_or_b32 exec_lo, exec_lo, s77
	s_delay_alu instid0(SALU_CYCLE_1) | instskip(NEXT) | instid1(SALU_CYCLE_1)
	s_and_b32 s76, exec_lo, s78
	s_or_b32 s72, s76, s72
	s_and_not1_b32 s73, s73, exec_lo
	s_and_b32 s76, s74, exec_lo
	s_delay_alu instid0(SALU_CYCLE_1)
	s_or_b32 s73, s73, s76
	s_and_not1_b32 exec_lo, exec_lo, s72
	s_cbranch_execz .LBB6_1161
.LBB6_1157:                             ;   Parent Loop BB6_47 Depth=1
                                        ;     Parent Loop BB6_1055 Depth=2
                                        ; =>    This Inner Loop Header: Depth=3
	s_add_co_i32 s75, s75, 1
	s_delay_alu instid0(SALU_CYCLE_1) | instskip(SKIP_1) | instid1(SALU_CYCLE_1)
	s_cmp_lg_u32 s75, 0x2710
	s_cselect_b32 s76, -1, 0
	s_and_b32 vcc_lo, exec_lo, s76
	s_cbranch_vccz .LBB6_1159
; %bb.1158:                             ;   in Loop: Header=BB6_1157 Depth=3
	s_mov_b32 s78, -1
	s_or_b32 s74, s74, exec_lo
	s_and_saveexec_b32 s77, s76
	s_cbranch_execz .LBB6_1156
	s_branch .LBB6_1160
.LBB6_1159:                             ;   in Loop: Header=BB6_1157 Depth=3
	s_trap 2
	ds_load_b64 v[12:13], v2
	s_and_not1_b32 s76, s76, exec_lo
	s_mov_b32 s75, 0
	s_wait_loadcnt_dscnt 0x0
	flat_load_b32 v2, v[12:13] scope:SCOPE_SYS
	s_wait_loadcnt_dscnt 0x0
	global_inv scope:SCOPE_SYS
	v_cmp_eq_u32_e32 vcc_lo, 0, v2
	s_and_b32 s77, vcc_lo, exec_lo
	s_delay_alu instid0(SALU_CYCLE_1)
	s_or_b32 s76, s76, s77
	s_mov_b32 s78, -1
	s_or_b32 s74, s74, exec_lo
	s_and_saveexec_b32 s77, s76
	s_cbranch_execz .LBB6_1156
.LBB6_1160:                             ;   in Loop: Header=BB6_1157 Depth=3
	s_sleep 1
	s_trap 2
	ds_load_b64 v[12:13], v2
	s_wait_dscnt 0x0
	s_and_not1_b32 s74, s74, exec_lo
	v_cmp_ge_u64_e32 vcc_lo, v[12:13], v[36:37]
	s_or_not1_b32 s78, vcc_lo, exec_lo
	s_branch .LBB6_1156
.LBB6_1161:                             ;   in Loop: Header=BB6_1055 Depth=2
	s_or_b32 exec_lo, exec_lo, s72
	s_and_saveexec_b32 s72, s73
	s_delay_alu instid0(SALU_CYCLE_1)
	s_xor_b32 s72, exec_lo, s72
	s_cbranch_execz .LBB6_1163
; %bb.1162:                             ;   in Loop: Header=BB6_1055 Depth=2
	ds_store_b32 v2, v121
	s_trap 2
.LBB6_1163:                             ;   in Loop: Header=BB6_1055 Depth=2
	s_or_b32 exec_lo, exec_lo, s45
	;;#ASMSTART
	s_wakeup
	;;#ASMEND
.LBB6_1164:                             ;   in Loop: Header=BB6_1055 Depth=2
	s_or_b32 exec_lo, exec_lo, s44
.LBB6_1165:                             ;   in Loop: Header=BB6_1055 Depth=2
	s_and_not1_saveexec_b32 s41, s41
	s_cbranch_execz .LBB6_1167
; %bb.1166:                             ;   in Loop: Header=BB6_1055 Depth=2
	global_wb scope:SCOPE_DEV
	s_wait_storecnt 0x0
	s_wait_loadcnt_dscnt 0x0
	global_inv scope:SCOPE_DEV
	s_barrier_signal -1
	s_barrier_wait -1
.LBB6_1167:                             ;   in Loop: Header=BB6_1055 Depth=2
	s_or_b32 exec_lo, exec_lo, s41
	s_delay_alu instid0(SALU_CYCLE_1) | instskip(SKIP_1) | instid1(SALU_CYCLE_1)
	s_or_b32 exec_lo, exec_lo, s20
	s_and_saveexec_b32 s20, s12
	s_xor_b32 s20, exec_lo, s20
	s_cbranch_execnz .LBB6_1127
.LBB6_1168:                             ;   in Loop: Header=BB6_1055 Depth=2
	s_and_not1_saveexec_b32 s13, s20
	s_cbranch_execz .LBB6_1187
.LBB6_1169:                             ;   in Loop: Header=BB6_1055 Depth=2
	s_and_saveexec_b32 s20, s3
	s_delay_alu instid0(SALU_CYCLE_1)
	s_xor_b32 s20, exec_lo, s20
	s_cbranch_execz .LBB6_1184
; %bb.1170:                             ;   in Loop: Header=BB6_1055 Depth=2
	s_and_saveexec_b32 s41, s6
	s_cbranch_execz .LBB6_1183
; %bb.1171:                             ;   in Loop: Header=BB6_1055 Depth=2
	s_mov_b32 s45, exec_lo
	s_mov_b32 s44, exec_lo
	v_mbcnt_lo_u32_b32 v2, s45, 0
	;;#ASMSTART
	s_waitcnt lgkmcnt(0) vmcnt(0)
	;;#ASMEND
	s_delay_alu instid0(VALU_DEP_1)
	v_cmpx_eq_u32_e32 0, v2
	s_cbranch_execz .LBB6_1173
; %bb.1172:                             ;   in Loop: Header=BB6_1055 Depth=2
	s_bcnt1_i32_b32 s45, s45
	s_delay_alu instid0(SALU_CYCLE_1)
	v_mov_b32_e32 v2, s45
	s_wait_storecnt 0x0
	s_wait_loadcnt_dscnt 0x0
	ds_add_u64 v2, v[2:3]
	s_trap 2
.LBB6_1173:                             ;   in Loop: Header=BB6_1055 Depth=2
	s_or_b32 exec_lo, exec_lo, s44
	s_trap 2
	ds_load_b64 v[12:13], v2
	s_wait_dscnt 0x0
	v_add_nc_u64_e32 v[36:37], v[36:37], v[48:49]
	s_mov_b32 s44, exec_lo
	s_delay_alu instid0(VALU_DEP_1)
	v_cmpx_lt_u64_e64 v[12:13], v[36:37]
	s_cbranch_execz .LBB6_1182
; %bb.1174:                             ;   in Loop: Header=BB6_1055 Depth=2
	s_mov_b32 s45, 0
	s_mov_b32 s74, 0
                                        ; implicit-def: $sgpr72
                                        ; implicit-def: $sgpr73
	s_branch .LBB6_1176
.LBB6_1175:                             ;   in Loop: Header=BB6_1176 Depth=3
	s_or_b32 exec_lo, exec_lo, s76
	s_delay_alu instid0(SALU_CYCLE_1) | instskip(NEXT) | instid1(SALU_CYCLE_1)
	s_and_b32 s75, exec_lo, s77
	s_or_b32 s45, s75, s45
	s_and_not1_b32 s72, s72, exec_lo
	s_and_b32 s75, s73, exec_lo
	s_delay_alu instid0(SALU_CYCLE_1)
	s_or_b32 s72, s72, s75
	s_and_not1_b32 exec_lo, exec_lo, s45
	s_cbranch_execz .LBB6_1180
.LBB6_1176:                             ;   Parent Loop BB6_47 Depth=1
                                        ;     Parent Loop BB6_1055 Depth=2
                                        ; =>    This Inner Loop Header: Depth=3
	s_add_co_i32 s74, s74, 1
	s_delay_alu instid0(SALU_CYCLE_1) | instskip(SKIP_1) | instid1(SALU_CYCLE_1)
	s_cmp_lg_u32 s74, 0x2710
	s_cselect_b32 s75, -1, 0
	s_and_b32 vcc_lo, exec_lo, s75
	s_cbranch_vccz .LBB6_1178
; %bb.1177:                             ;   in Loop: Header=BB6_1176 Depth=3
	s_mov_b32 s77, -1
	s_or_b32 s73, s73, exec_lo
	s_and_saveexec_b32 s76, s75
	s_cbranch_execz .LBB6_1175
	s_branch .LBB6_1179
.LBB6_1178:                             ;   in Loop: Header=BB6_1176 Depth=3
	s_trap 2
	ds_load_b64 v[12:13], v2
	s_and_not1_b32 s75, s75, exec_lo
	s_mov_b32 s74, 0
	s_wait_storecnt 0x0
	s_wait_loadcnt_dscnt 0x0
	flat_load_b32 v2, v[12:13] scope:SCOPE_SYS
	s_wait_loadcnt_dscnt 0x0
	global_inv scope:SCOPE_SYS
	v_cmp_eq_u32_e32 vcc_lo, 0, v2
	s_and_b32 s76, vcc_lo, exec_lo
	s_delay_alu instid0(SALU_CYCLE_1)
	s_or_b32 s75, s75, s76
	s_mov_b32 s77, -1
	s_or_b32 s73, s73, exec_lo
	s_and_saveexec_b32 s76, s75
	s_cbranch_execz .LBB6_1175
.LBB6_1179:                             ;   in Loop: Header=BB6_1176 Depth=3
	s_sleep 1
	s_trap 2
	ds_load_b64 v[12:13], v2
	s_wait_dscnt 0x0
	s_and_not1_b32 s73, s73, exec_lo
	v_cmp_ge_u64_e32 vcc_lo, v[12:13], v[36:37]
	s_or_not1_b32 s77, vcc_lo, exec_lo
	s_branch .LBB6_1175
.LBB6_1180:                             ;   in Loop: Header=BB6_1055 Depth=2
	s_or_b32 exec_lo, exec_lo, s45
	s_and_saveexec_b32 s45, s72
	s_delay_alu instid0(SALU_CYCLE_1)
	s_xor_b32 s45, exec_lo, s45
	s_cbranch_execz .LBB6_1182
; %bb.1181:                             ;   in Loop: Header=BB6_1055 Depth=2
	ds_store_b32 v2, v121
	s_trap 2
.LBB6_1182:                             ;   in Loop: Header=BB6_1055 Depth=2
	s_or_b32 exec_lo, exec_lo, s44
	;;#ASMSTART
	s_wakeup
	;;#ASMEND
.LBB6_1183:                             ;   in Loop: Header=BB6_1055 Depth=2
	s_or_b32 exec_lo, exec_lo, s41
.LBB6_1184:                             ;   in Loop: Header=BB6_1055 Depth=2
	s_and_not1_saveexec_b32 s20, s20
	s_cbranch_execz .LBB6_1186
; %bb.1185:                             ;   in Loop: Header=BB6_1055 Depth=2
	;;#ASMSTART
	s_waitcnt lgkmcnt(0) vmcnt(0)
	;;#ASMEND
	s_barrier_signal -1
	s_barrier_wait -1
.LBB6_1186:                             ;   in Loop: Header=BB6_1055 Depth=2
	s_or_b32 exec_lo, exec_lo, s20
.LBB6_1187:                             ;   in Loop: Header=BB6_1055 Depth=2
	s_delay_alu instid0(SALU_CYCLE_1) | instskip(SKIP_2) | instid1(VALU_DEP_1)
	s_or_b32 exec_lo, exec_lo, s13
	v_and_b32_e32 v2, 32, v30
	s_mov_b32 s13, exec_lo
	v_cmpx_ne_u32_e32 0, v2
	s_cbranch_execz .LBB6_1054
; %bb.1188:                             ;   in Loop: Header=BB6_1055 Depth=2
	v_add_nc_u64_e32 v[112:113], 2, v[112:113]
	global_wb scope:SCOPE_SYS
	s_wait_storecnt 0x0
	s_wait_loadcnt_dscnt 0x0
	flat_store_b64 v[26:27], v[112:113] scope:SCOPE_SYS
	s_branch .LBB6_1054
.LBB6_1189:                             ;   in Loop: Header=BB6_47 Depth=1
	s_or_b32 exec_lo, exec_lo, s15
.LBB6_1190:                             ;   in Loop: Header=BB6_47 Depth=1
	s_delay_alu instid0(SALU_CYCLE_1) | instskip(NEXT) | instid1(SALU_CYCLE_1)
	s_or_b32 exec_lo, exec_lo, s14
	s_mov_b32 s14, exec_lo
	v_cmpx_gt_i32_e32 2, v2
	s_cbranch_execz .LBB6_46
; %bb.1191:                             ;   in Loop: Header=BB6_47 Depth=1
	v_cmp_eq_u32_e64 s16, 0, v2
	s_mov_b32 s15, 0
	s_branch .LBB6_1193
.LBB6_1192:                             ;   in Loop: Header=BB6_1193 Depth=2
	s_wait_xcnt 0x0
	s_or_b32 exec_lo, exec_lo, s13
	v_add_nc_u32_e32 v8, v23, v8
	s_mov_b32 s16, 0
	s_and_not1_b32 exec_lo, exec_lo, s15
	s_cbranch_execz .LBB6_45
.LBB6_1193:                             ;   Parent Loop BB6_47 Depth=1
                                        ; =>  This Loop Header: Depth=2
                                        ;       Child Loop BB6_1199 Depth 3
                                        ;       Child Loop BB6_1223 Depth 3
	;; [unrolled: 1-line block ×3, first 2 shown]
	v_and_b32_e32 v2, 4, v30
	s_mov_b32 s17, exec_lo
	s_delay_alu instid0(VALU_DEP_1)
	v_cmpx_ne_u32_e32 0, v2
	s_cbranch_execz .LBB6_1215
; %bb.1194:                             ;   in Loop: Header=BB6_1193 Depth=2
	v_add_nc_u64_e32 v[10:11], 2, v[112:113]
	s_mov_b32 s20, exec_lo
	s_wait_loadcnt_dscnt 0x1
	s_delay_alu instid0(VALU_DEP_1)
	v_cmpx_lt_u64_e64 v[38:39], v[10:11]
	s_cbranch_execz .LBB6_1206
; %bb.1195:                             ;   in Loop: Header=BB6_1193 Depth=2
	v_and_b32_e32 v2, 64, v30
	s_mov_b32 s41, 0
	s_mov_b32 s73, 0
                                        ; implicit-def: $sgpr44
                                        ; implicit-def: $sgpr45
                                        ; implicit-def: $sgpr72
	s_delay_alu instid0(VALU_DEP_1)
	v_cmp_eq_u32_e32 vcc_lo, 0, v2
	s_branch .LBB6_1199
.LBB6_1196:                             ;   in Loop: Header=BB6_1199 Depth=3
	s_wait_loadcnt_dscnt 0x0
	v_cmp_ge_u64_e64 s13, v[38:39], v[10:11]
	s_or_b32 s76, s76, exec_lo
	s_or_not1_b32 s75, s13, exec_lo
.LBB6_1197:                             ;   in Loop: Header=BB6_1199 Depth=3
	s_or_b32 exec_lo, exec_lo, s78
	s_delay_alu instid0(SALU_CYCLE_1)
	s_and_not1_b32 s13, s72, exec_lo
	s_and_b32 s72, s76, exec_lo
	s_and_not1_b32 s45, s45, exec_lo
	s_and_b32 s75, s75, exec_lo
	s_or_b32 s72, s13, s72
	s_or_b32 s45, s45, s75
.LBB6_1198:                             ;   in Loop: Header=BB6_1199 Depth=3
	s_or_b32 exec_lo, exec_lo, s74
	s_delay_alu instid0(SALU_CYCLE_1) | instskip(NEXT) | instid1(SALU_CYCLE_1)
	s_and_b32 s13, exec_lo, s45
	s_or_b32 s41, s13, s41
	s_and_not1_b32 s13, s44, exec_lo
	s_and_b32 s44, s72, exec_lo
	s_delay_alu instid0(SALU_CYCLE_1)
	s_or_b32 s44, s13, s44
	s_and_not1_b32 exec_lo, exec_lo, s41
	s_cbranch_execz .LBB6_1203
.LBB6_1199:                             ;   Parent Loop BB6_47 Depth=1
                                        ;     Parent Loop BB6_1193 Depth=2
                                        ; =>    This Inner Loop Header: Depth=3
	s_sleep 1
	s_wait_loadcnt_dscnt 0x0
	flat_load_b64 v[38:39], v[26:27] scope:SCOPE_SYS
	s_or_b32 s72, s72, exec_lo
	s_or_b32 s45, s45, exec_lo
                                        ; implicit-def: $vgpr2
	s_wait_xcnt 0x0
	s_and_saveexec_b32 s74, vcc_lo
	s_cbranch_execz .LBB6_1198
; %bb.1200:                             ;   in Loop: Header=BB6_1199 Depth=3
	s_cmp_lt_i32 s73, 0x270f
	s_mov_b32 s75, -1
	s_cselect_b32 s77, -1, 0
	s_cmp_gt_i32 s73, 0x270e
	s_cbranch_scc0 .LBB6_1202
; %bb.1201:                             ;   in Loop: Header=BB6_1199 Depth=3
	s_trap 2
	ds_load_b64 v[12:13], v9
	s_and_not1_b32 s73, s77, exec_lo
	s_mov_b32 s76, 0
	s_wait_storecnt 0x0
	s_wait_loadcnt_dscnt 0x0
	flat_load_b32 v2, v[12:13] scope:SCOPE_SYS
	s_wait_loadcnt_dscnt 0x0
	global_inv scope:SCOPE_SYS
	v_cmp_eq_u32_e64 s13, 0, v2
	s_and_b32 s13, s13, exec_lo
	s_delay_alu instid0(SALU_CYCLE_1)
	s_or_b32 s77, s73, s13
	s_mov_b32 s73, 0
	s_and_saveexec_b32 s78, s77
	s_cbranch_execz .LBB6_1197
	s_branch .LBB6_1196
.LBB6_1202:                             ;   in Loop: Header=BB6_1199 Depth=3
	s_add_co_i32 s73, s73, 1
	s_mov_b32 s76, -1
                                        ; implicit-def: $vgpr2
	s_and_saveexec_b32 s78, s77
	s_cbranch_execz .LBB6_1197
	s_branch .LBB6_1196
.LBB6_1203:                             ;   in Loop: Header=BB6_1193 Depth=2
	s_or_b32 exec_lo, exec_lo, s41
	s_xor_b32 s13, s44, -1
	s_delay_alu instid0(SALU_CYCLE_1) | instskip(NEXT) | instid1(SALU_CYCLE_1)
	s_and_saveexec_b32 s41, s13
	s_xor_b32 s13, exec_lo, s41
	s_cbranch_execz .LBB6_1205
; %bb.1204:                             ;   in Loop: Header=BB6_1193 Depth=2
	v_or_b32_e32 v30, 64, v30
	s_wait_storecnt 0x0
	s_wait_loadcnt_dscnt 0x0
	ds_store_b32 v9, v2
	s_trap 2
.LBB6_1205:                             ;   in Loop: Header=BB6_1193 Depth=2
	s_or_b32 exec_lo, exec_lo, s13
.LBB6_1206:                             ;   in Loop: Header=BB6_1193 Depth=2
	s_delay_alu instid0(SALU_CYCLE_1) | instskip(SKIP_3) | instid1(VALU_DEP_1)
	s_or_b32 exec_lo, exec_lo, s20
	v_and_b32_e32 v2, 0x100, v30
	s_mov_b32 s13, -1
	;;#ASMSTART
	s_wakeup
	;;#ASMEND
                                        ; implicit-def: $vgpr12_vgpr13
	v_cmp_ne_u32_e32 vcc_lo, 0, v2
	v_and_b32_e32 v2, 7, v112
	s_and_saveexec_b32 s20, vcc_lo
	s_cbranch_execz .LBB6_1210
; %bb.1207:                             ;   in Loop: Header=BB6_1193 Depth=2
	s_delay_alu instid0(VALU_DEP_1)
	v_mad_nc_u64_u32 v[14:15], v2, 24, v[6:7]
	s_mov_b32 s41, exec_lo
                                        ; implicit-def: $vgpr12_vgpr13
	flat_load_b32 v9, v[14:15]
	s_wait_loadcnt_dscnt 0x0
	v_cmp_ne_u32_e32 vcc_lo, 1, v9
	s_wait_xcnt 0x0
	v_cmpx_eq_u32_e32 1, v9
	s_cbranch_execz .LBB6_1209
; %bb.1208:                             ;   in Loop: Header=BB6_1193 Depth=2
	flat_load_b32 v12, v[14:15] offset:4 scope:SCOPE_SYS
	s_wait_loadcnt_dscnt 0x0
	v_ashrrev_i32_e32 v13, 31, v12
	s_delay_alu instid0(VALU_DEP_1)
	v_lshrrev_b64 v[12:13], 3, v[12:13]
.LBB6_1209:                             ;   in Loop: Header=BB6_1193 Depth=2
	s_wait_xcnt 0x0
	s_or_b32 exec_lo, exec_lo, s41
	s_delay_alu instid0(SALU_CYCLE_1)
	s_or_not1_b32 s13, vcc_lo, exec_lo
.LBB6_1210:                             ;   in Loop: Header=BB6_1193 Depth=2
	s_or_b32 exec_lo, exec_lo, s20
	s_and_saveexec_b32 s20, s13
; %bb.1211:                             ;   in Loop: Header=BB6_1193 Depth=2
	v_mul_u64_e32 v[12:13], v[2:3], v[28:29]
; %bb.1212:                             ;   in Loop: Header=BB6_1193 Depth=2
	s_or_b32 exec_lo, exec_lo, s20
	v_and_b32_e32 v2, 0x2000, v30
	s_delay_alu instid0(VALU_DEP_2)
	v_lshl_add_u64 v[12:13], v[12:13], 3, v[32:33]
	s_mov_b32 s13, exec_lo
	ds_store_b64 v0, v[12:13] offset:720
	v_cmpx_ne_u32_e32 0, v2
	s_cbranch_execz .LBB6_1214
; %bb.1213:                             ;   in Loop: Header=BB6_1193 Depth=2
	ds_load_b64 v[12:13], v0 offset:872
	s_wait_dscnt 0x0
	v_add_nc_u64_e32 v[12:13], 1, v[12:13]
	ds_store_b64 v0, v[12:13] offset:872
.LBB6_1214:                             ;   in Loop: Header=BB6_1193 Depth=2
	s_or_b32 exec_lo, exec_lo, s13
	v_mov_b64_e32 v[112:113], v[10:11]
.LBB6_1215:                             ;   in Loop: Header=BB6_1193 Depth=2
	s_or_b32 exec_lo, exec_lo, s17
	s_xor_b32 s13, s16, -1
	s_delay_alu instid0(SALU_CYCLE_1) | instskip(NEXT) | instid1(SALU_CYCLE_1)
	s_and_b32 s13, exec_lo, s13
	s_or_b32 s15, s13, s15
	s_and_saveexec_b32 s13, s2
	s_cbranch_execz .LBB6_1234
; %bb.1216:                             ;   in Loop: Header=BB6_1193 Depth=2
	s_and_saveexec_b32 s16, s3
	s_delay_alu instid0(SALU_CYCLE_1)
	s_xor_b32 s16, exec_lo, s16
	s_cbranch_execz .LBB6_1231
; %bb.1217:                             ;   in Loop: Header=BB6_1193 Depth=2
	s_and_saveexec_b32 s17, s6
	s_cbranch_execz .LBB6_1230
; %bb.1218:                             ;   in Loop: Header=BB6_1193 Depth=2
	s_mov_b32 s41, exec_lo
	s_mov_b32 s20, exec_lo
	v_mbcnt_lo_u32_b32 v2, s41, 0
	global_wb scope:SCOPE_DEV
	s_wait_storecnt 0x0
	s_wait_loadcnt_dscnt 0x0
	global_inv scope:SCOPE_DEV
	v_cmpx_eq_u32_e32 0, v2
	s_cbranch_execz .LBB6_1220
; %bb.1219:                             ;   in Loop: Header=BB6_1193 Depth=2
	s_bcnt1_i32_b32 s41, s41
	s_delay_alu instid0(SALU_CYCLE_1)
	v_mov_b32_e32 v2, s41
	s_wait_loadcnt 0x0
	ds_add_u64 v2, v[2:3]
	s_trap 2
.LBB6_1220:                             ;   in Loop: Header=BB6_1193 Depth=2
	s_or_b32 exec_lo, exec_lo, s20
	s_trap 2
	ds_load_b64 v[10:11], v2
	s_wait_dscnt 0x0
	v_add_nc_u64_e32 v[36:37], v[36:37], v[48:49]
	s_mov_b32 s20, exec_lo
	s_delay_alu instid0(VALU_DEP_1)
	v_cmpx_lt_u64_e64 v[10:11], v[36:37]
	s_cbranch_execz .LBB6_1229
; %bb.1221:                             ;   in Loop: Header=BB6_1193 Depth=2
	s_mov_b32 s41, 0
	s_mov_b32 s72, 0
                                        ; implicit-def: $sgpr44
                                        ; implicit-def: $sgpr45
	s_branch .LBB6_1223
.LBB6_1222:                             ;   in Loop: Header=BB6_1223 Depth=3
	s_or_b32 exec_lo, exec_lo, s74
	s_delay_alu instid0(SALU_CYCLE_1) | instskip(NEXT) | instid1(SALU_CYCLE_1)
	s_and_b32 s73, exec_lo, s75
	s_or_b32 s41, s73, s41
	s_and_not1_b32 s44, s44, exec_lo
	s_and_b32 s73, s45, exec_lo
	s_delay_alu instid0(SALU_CYCLE_1)
	s_or_b32 s44, s44, s73
	s_and_not1_b32 exec_lo, exec_lo, s41
	s_cbranch_execz .LBB6_1227
.LBB6_1223:                             ;   Parent Loop BB6_47 Depth=1
                                        ;     Parent Loop BB6_1193 Depth=2
                                        ; =>    This Inner Loop Header: Depth=3
	s_add_co_i32 s72, s72, 1
	s_delay_alu instid0(SALU_CYCLE_1) | instskip(SKIP_1) | instid1(SALU_CYCLE_1)
	s_cmp_lg_u32 s72, 0x2710
	s_cselect_b32 s73, -1, 0
	s_and_b32 vcc_lo, exec_lo, s73
	s_cbranch_vccz .LBB6_1225
; %bb.1224:                             ;   in Loop: Header=BB6_1223 Depth=3
	s_mov_b32 s75, -1
	s_or_b32 s45, s45, exec_lo
	s_and_saveexec_b32 s74, s73
	s_cbranch_execz .LBB6_1222
	s_branch .LBB6_1226
.LBB6_1225:                             ;   in Loop: Header=BB6_1223 Depth=3
	s_trap 2
	ds_load_b64 v[10:11], v2
	s_and_not1_b32 s73, s73, exec_lo
	s_mov_b32 s72, 0
	s_wait_loadcnt_dscnt 0x0
	flat_load_b32 v2, v[10:11] scope:SCOPE_SYS
	s_wait_loadcnt_dscnt 0x0
	global_inv scope:SCOPE_SYS
	v_cmp_eq_u32_e32 vcc_lo, 0, v2
	s_and_b32 s74, vcc_lo, exec_lo
	s_delay_alu instid0(SALU_CYCLE_1)
	s_or_b32 s73, s73, s74
	s_mov_b32 s75, -1
	s_or_b32 s45, s45, exec_lo
	s_and_saveexec_b32 s74, s73
	s_cbranch_execz .LBB6_1222
.LBB6_1226:                             ;   in Loop: Header=BB6_1223 Depth=3
	s_sleep 1
	s_trap 2
	ds_load_b64 v[10:11], v2
	s_wait_dscnt 0x0
	s_and_not1_b32 s45, s45, exec_lo
	v_cmp_ge_u64_e32 vcc_lo, v[10:11], v[36:37]
	s_or_not1_b32 s75, vcc_lo, exec_lo
	s_branch .LBB6_1222
.LBB6_1227:                             ;   in Loop: Header=BB6_1193 Depth=2
	s_or_b32 exec_lo, exec_lo, s41
	s_and_saveexec_b32 s41, s44
	s_delay_alu instid0(SALU_CYCLE_1)
	s_xor_b32 s41, exec_lo, s41
	s_cbranch_execz .LBB6_1229
; %bb.1228:                             ;   in Loop: Header=BB6_1193 Depth=2
	ds_store_b32 v2, v121
	s_trap 2
.LBB6_1229:                             ;   in Loop: Header=BB6_1193 Depth=2
	s_or_b32 exec_lo, exec_lo, s20
	;;#ASMSTART
	s_wakeup
	;;#ASMEND
.LBB6_1230:                             ;   in Loop: Header=BB6_1193 Depth=2
	s_or_b32 exec_lo, exec_lo, s17
.LBB6_1231:                             ;   in Loop: Header=BB6_1193 Depth=2
	s_and_not1_saveexec_b32 s16, s16
	s_cbranch_execz .LBB6_1233
; %bb.1232:                             ;   in Loop: Header=BB6_1193 Depth=2
	global_wb scope:SCOPE_DEV
	s_wait_storecnt 0x0
	s_wait_loadcnt_dscnt 0x0
	global_inv scope:SCOPE_DEV
	s_barrier_signal -1
	s_barrier_wait -1
.LBB6_1233:                             ;   in Loop: Header=BB6_1193 Depth=2
	s_or_b32 exec_lo, exec_lo, s16
.LBB6_1234:                             ;   in Loop: Header=BB6_1193 Depth=2
	s_delay_alu instid0(SALU_CYCLE_1) | instskip(SKIP_1) | instid1(VALU_DEP_1)
	s_or_b32 exec_lo, exec_lo, s13
	v_sub_nc_u32_e32 v2, v22, v8
	v_min_i32_e32 v23, v23, v2
	s_and_saveexec_b32 s13, s12
	s_delay_alu instid0(SALU_CYCLE_1)
	s_xor_b32 s16, exec_lo, s13
	s_cbranch_execz .LBB6_1238
; %bb.1235:                             ;   in Loop: Header=BB6_1193 Depth=2
	s_trap 2
	ds_load_b32 v2, v2
	v_cmp_lt_i32_e32 vcc_lo, 0, v23
	s_wait_dscnt 0x0
	v_readfirstlane_b32 s13, v2
	v_and_b32_e32 v2, 16, v30
	s_cmp_eq_u32 s13, 0
	s_delay_alu instid0(VALU_DEP_1) | instskip(SKIP_1) | instid1(SALU_CYCLE_1)
	v_cmp_ne_u32_e64 s13, 0, v2
	s_cselect_b32 s17, -1, 0
	s_and_b32 s17, vcc_lo, s17
	s_delay_alu instid0(SALU_CYCLE_1) | instskip(NEXT) | instid1(SALU_CYCLE_1)
	s_and_b32 s17, s13, s17
	s_and_saveexec_b32 s13, s17
	s_cbranch_execz .LBB6_1237
; %bb.1236:                             ;   in Loop: Header=BB6_1193 Depth=2
	global_wb scope:SCOPE_SYS
	s_wait_loadcnt 0x0
	s_wait_storecnt 0x0
	global_inv scope:SCOPE_SYS
.LBB6_1237:                             ;   in Loop: Header=BB6_1193 Depth=2
	s_or_b32 exec_lo, exec_lo, s13
.LBB6_1238:                             ;   in Loop: Header=BB6_1193 Depth=2
	s_and_not1_saveexec_b32 s13, s16
	s_cbranch_execz .LBB6_1257
; %bb.1239:                             ;   in Loop: Header=BB6_1193 Depth=2
	s_and_saveexec_b32 s16, s3
	s_delay_alu instid0(SALU_CYCLE_1)
	s_xor_b32 s16, exec_lo, s16
	s_cbranch_execz .LBB6_1254
; %bb.1240:                             ;   in Loop: Header=BB6_1193 Depth=2
	s_and_saveexec_b32 s17, s6
	s_cbranch_execz .LBB6_1253
; %bb.1241:                             ;   in Loop: Header=BB6_1193 Depth=2
	s_mov_b32 s41, exec_lo
	s_mov_b32 s20, exec_lo
	v_mbcnt_lo_u32_b32 v2, s41, 0
	;;#ASMSTART
	s_waitcnt lgkmcnt(0) vmcnt(0)
	;;#ASMEND
	s_delay_alu instid0(VALU_DEP_1)
	v_cmpx_eq_u32_e32 0, v2
	s_cbranch_execz .LBB6_1243
; %bb.1242:                             ;   in Loop: Header=BB6_1193 Depth=2
	s_bcnt1_i32_b32 s41, s41
	s_delay_alu instid0(SALU_CYCLE_1)
	v_mov_b32_e32 v2, s41
	s_wait_storecnt 0x0
	s_wait_loadcnt_dscnt 0x0
	ds_add_u64 v2, v[2:3]
	s_trap 2
.LBB6_1243:                             ;   in Loop: Header=BB6_1193 Depth=2
	s_or_b32 exec_lo, exec_lo, s20
	s_trap 2
	ds_load_b64 v[10:11], v2
	s_wait_dscnt 0x0
	v_add_nc_u64_e32 v[36:37], v[36:37], v[48:49]
	s_mov_b32 s20, exec_lo
	s_delay_alu instid0(VALU_DEP_1)
	v_cmpx_lt_u64_e64 v[10:11], v[36:37]
	s_cbranch_execz .LBB6_1252
; %bb.1244:                             ;   in Loop: Header=BB6_1193 Depth=2
	s_mov_b32 s41, 0
	s_mov_b32 s72, 0
                                        ; implicit-def: $sgpr44
                                        ; implicit-def: $sgpr45
	s_branch .LBB6_1246
.LBB6_1245:                             ;   in Loop: Header=BB6_1246 Depth=3
	s_or_b32 exec_lo, exec_lo, s74
	s_delay_alu instid0(SALU_CYCLE_1) | instskip(NEXT) | instid1(SALU_CYCLE_1)
	s_and_b32 s73, exec_lo, s75
	s_or_b32 s41, s73, s41
	s_and_not1_b32 s44, s44, exec_lo
	s_and_b32 s73, s45, exec_lo
	s_delay_alu instid0(SALU_CYCLE_1)
	s_or_b32 s44, s44, s73
	s_and_not1_b32 exec_lo, exec_lo, s41
	s_cbranch_execz .LBB6_1250
.LBB6_1246:                             ;   Parent Loop BB6_47 Depth=1
                                        ;     Parent Loop BB6_1193 Depth=2
                                        ; =>    This Inner Loop Header: Depth=3
	s_add_co_i32 s72, s72, 1
	s_delay_alu instid0(SALU_CYCLE_1) | instskip(SKIP_1) | instid1(SALU_CYCLE_1)
	s_cmp_lg_u32 s72, 0x2710
	s_cselect_b32 s73, -1, 0
	s_and_b32 vcc_lo, exec_lo, s73
	s_cbranch_vccz .LBB6_1248
; %bb.1247:                             ;   in Loop: Header=BB6_1246 Depth=3
	s_mov_b32 s75, -1
	s_or_b32 s45, s45, exec_lo
	s_and_saveexec_b32 s74, s73
	s_cbranch_execz .LBB6_1245
	s_branch .LBB6_1249
.LBB6_1248:                             ;   in Loop: Header=BB6_1246 Depth=3
	s_trap 2
	ds_load_b64 v[10:11], v2
	s_and_not1_b32 s73, s73, exec_lo
	s_mov_b32 s72, 0
	s_wait_storecnt 0x0
	s_wait_loadcnt_dscnt 0x0
	flat_load_b32 v2, v[10:11] scope:SCOPE_SYS
	s_wait_loadcnt_dscnt 0x0
	global_inv scope:SCOPE_SYS
	v_cmp_eq_u32_e32 vcc_lo, 0, v2
	s_and_b32 s74, vcc_lo, exec_lo
	s_delay_alu instid0(SALU_CYCLE_1)
	s_or_b32 s73, s73, s74
	s_mov_b32 s75, -1
	s_or_b32 s45, s45, exec_lo
	s_and_saveexec_b32 s74, s73
	s_cbranch_execz .LBB6_1245
.LBB6_1249:                             ;   in Loop: Header=BB6_1246 Depth=3
	s_sleep 1
	s_trap 2
	ds_load_b64 v[10:11], v2
	s_wait_dscnt 0x0
	s_and_not1_b32 s45, s45, exec_lo
	v_cmp_ge_u64_e32 vcc_lo, v[10:11], v[36:37]
	s_or_not1_b32 s75, vcc_lo, exec_lo
	s_branch .LBB6_1245
.LBB6_1250:                             ;   in Loop: Header=BB6_1193 Depth=2
	s_or_b32 exec_lo, exec_lo, s41
	s_and_saveexec_b32 s41, s44
	s_delay_alu instid0(SALU_CYCLE_1)
	s_xor_b32 s41, exec_lo, s41
	s_cbranch_execz .LBB6_1252
; %bb.1251:                             ;   in Loop: Header=BB6_1193 Depth=2
	ds_store_b32 v2, v121
	s_trap 2
.LBB6_1252:                             ;   in Loop: Header=BB6_1193 Depth=2
	s_or_b32 exec_lo, exec_lo, s20
	;;#ASMSTART
	s_wakeup
	;;#ASMEND
.LBB6_1253:                             ;   in Loop: Header=BB6_1193 Depth=2
	s_or_b32 exec_lo, exec_lo, s17
.LBB6_1254:                             ;   in Loop: Header=BB6_1193 Depth=2
	s_and_not1_saveexec_b32 s16, s16
	s_cbranch_execz .LBB6_1256
; %bb.1255:                             ;   in Loop: Header=BB6_1193 Depth=2
	;;#ASMSTART
	s_waitcnt lgkmcnt(0) vmcnt(0)
	;;#ASMEND
	s_barrier_signal -1
	s_barrier_wait -1
.LBB6_1256:                             ;   in Loop: Header=BB6_1193 Depth=2
	s_or_b32 exec_lo, exec_lo, s16
.LBB6_1257:                             ;   in Loop: Header=BB6_1193 Depth=2
	s_delay_alu instid0(SALU_CYCLE_1) | instskip(SKIP_2) | instid1(VALU_DEP_1)
	s_or_b32 exec_lo, exec_lo, s13
	v_and_b32_e32 v2, 32, v30
	s_mov_b32 s13, exec_lo
	v_cmpx_ne_u32_e32 0, v2
	s_cbranch_execz .LBB6_1192
; %bb.1258:                             ;   in Loop: Header=BB6_1193 Depth=2
	v_add_nc_u64_e32 v[112:113], 2, v[112:113]
	global_wb scope:SCOPE_SYS
	s_wait_storecnt 0x0
	s_wait_loadcnt_dscnt 0x0
	flat_store_b64 v[26:27], v[112:113] scope:SCOPE_SYS
	s_branch .LBB6_1192
.LBB6_1259:
	s_or_b32 exec_lo, exec_lo, s63
	s_clause 0x1
	scratch_load_b64 v[24:25], off, s33 offset:204
	scratch_load_b32 v10, off, s33 offset:212
.LBB6_1260:
	s_wait_xcnt 0x0
	s_or_b32 exec_lo, exec_lo, s47
	v_and_b32_e32 v0, 0x800, v30
	s_mov_b32 s1, exec_lo
	s_delay_alu instid0(VALU_DEP_1)
	v_cmpx_eq_u32_e32 0, v0
	s_cbranch_execz .LBB6_1293
; %bb.1261:
	v_and_b32_e32 v0, 48, v30
	s_mov_b32 s0, exec_lo
	s_delay_alu instid0(VALU_DEP_1)
	v_cmpx_ne_u32_e32 0, v0
	s_cbranch_execz .LBB6_1263
; %bb.1262:
	s_wait_loadcnt 0x1
	flat_store_b64 v[24:25], v[112:113] offset:104
.LBB6_1263:
	s_wait_xcnt 0x0
	s_or_b32 exec_lo, exec_lo, s0
	v_and_b32_e32 v0, 0x88, v30
	s_mov_b32 s2, exec_lo
	s_delay_alu instid0(VALU_DEP_1)
	v_cmpx_eq_u32_e32 0x88, v0
	s_cbranch_execz .LBB6_1273
; %bb.1264:
	v_add_nc_u32_e32 v0, 6, v112
	s_mov_b32 s3, 0
	s_delay_alu instid0(VALU_DEP_1) | instskip(NEXT) | instid1(VALU_DEP_1)
	v_and_b32_e32 v0, 7, v0
	v_mad_nc_u64_u32 v[2:3], v0, 24, v[6:7]
	v_and_b32_e32 v0, 64, v30
	s_delay_alu instid0(VALU_DEP_1)
	v_cmp_eq_u32_e64 s0, 0, v0
	flat_load_b64 v[4:5], v[2:3] offset:8 scope:SCOPE_SYS
	s_wait_loadcnt_dscnt 0x0
	v_cmp_ne_u64_e32 vcc_lo, -1, v[4:5]
	s_and_b32 s0, vcc_lo, s0
	s_wait_xcnt 0x0
	s_and_b32 exec_lo, exec_lo, s0
	s_cbranch_execz .LBB6_1273
; %bb.1265:
	s_mov_b32 s5, 0
                                        ; implicit-def: $sgpr0
                                        ; implicit-def: $sgpr4
	s_branch .LBB6_1268
.LBB6_1266:                             ;   in Loop: Header=BB6_1268 Depth=1
	flat_load_b64 v[4:5], v[2:3] offset:8 scope:SCOPE_SYS
	s_wait_loadcnt 0x0
	s_and_not1_b32 s4, s4, exec_lo
	s_wait_dscnt 0x0
	v_cmp_eq_u64_e32 vcc_lo, -1, v[4:5]
	s_or_not1_b32 s7, vcc_lo, exec_lo
.LBB6_1267:                             ;   in Loop: Header=BB6_1268 Depth=1
	s_wait_xcnt 0x0
	s_or_b32 exec_lo, exec_lo, s10
	s_delay_alu instid0(SALU_CYCLE_1) | instskip(NEXT) | instid1(SALU_CYCLE_1)
	s_and_b32 s6, exec_lo, s7
	s_or_b32 s3, s6, s3
	s_and_not1_b32 s0, s0, exec_lo
	s_and_b32 s6, s4, exec_lo
	s_delay_alu instid0(SALU_CYCLE_1)
	s_or_b32 s0, s0, s6
	s_and_not1_b32 exec_lo, exec_lo, s3
	s_cbranch_execz .LBB6_1271
.LBB6_1268:                             ; =>This Inner Loop Header: Depth=1
	s_cmp_lt_i32 s5, 0x270f
	s_cselect_b32 s6, -1, 0
	s_delay_alu instid0(SALU_CYCLE_1)
	s_and_b32 vcc_lo, exec_lo, s6
	s_cbranch_vccnz .LBB6_1270
; %bb.1269:                             ;   in Loop: Header=BB6_1268 Depth=1
	s_trap 2
	ds_load_b64 v[4:5], v4
	s_and_not1_b32 s6, s6, exec_lo
	s_mov_b32 s5, 0
	s_wait_storecnt_dscnt 0x0
	flat_load_b32 v0, v[4:5] scope:SCOPE_SYS
	s_wait_loadcnt_dscnt 0x0
	global_inv scope:SCOPE_SYS
	v_cmp_eq_u32_e32 vcc_lo, 0, v0
	s_and_b32 s7, vcc_lo, exec_lo
	s_delay_alu instid0(SALU_CYCLE_1)
	s_or_b32 s6, s6, s7
	s_mov_b32 s7, -1
	s_or_b32 s4, s4, exec_lo
	s_wait_xcnt 0x0
	s_and_saveexec_b32 s10, s6
	s_cbranch_execz .LBB6_1267
	s_branch .LBB6_1266
.LBB6_1270:                             ;   in Loop: Header=BB6_1268 Depth=1
	s_add_co_i32 s5, s5, 1
                                        ; implicit-def: $vgpr0
	s_mov_b32 s7, -1
	s_or_b32 s4, s4, exec_lo
	s_and_saveexec_b32 s10, s6
	s_cbranch_execz .LBB6_1267
	s_branch .LBB6_1266
.LBB6_1271:
	s_or_b32 exec_lo, exec_lo, s3
	s_and_saveexec_b32 s3, s0
	s_delay_alu instid0(SALU_CYCLE_1)
	s_xor_b32 s3, exec_lo, s3
	s_cbranch_execz .LBB6_1273
; %bb.1272:
	s_wait_loadcnt 0x0
	s_wait_storecnt 0x0
	ds_store_b32 v2, v0
	s_trap 2
.LBB6_1273:
	s_or_b32 exec_lo, exec_lo, s2
	v_and_b32_e32 v0, 0x2000, v30
	s_mov_b32 s0, exec_lo
	s_delay_alu instid0(VALU_DEP_1)
	v_cmpx_ne_u32_e32 0, v0
	s_cbranch_execz .LBB6_1275
; %bb.1274:
	s_trap 2
	scratch_load_b64 v[4:5], off, s33 offset:216 th:TH_LOAD_LU ; 8-byte Folded Reload
	ds_load_b64 v[2:3], v0
	s_wait_loadcnt_dscnt 0x0
	flat_store_b64 v[4:5], v[2:3] offset:16
.LBB6_1275:
	s_wait_xcnt 0x0
	s_or_b32 exec_lo, exec_lo, s0
	v_cmp_ne_u32_e32 vcc_lo, 32, v1
	s_and_b32 exec_lo, exec_lo, vcc_lo
	s_cbranch_execz .LBB6_1293
; %bb.1276:
	s_mov_b32 s0, exec_lo
	s_wait_loadcnt 0x0
	v_cmpx_ne_u32_e64 v1, v10
	s_xor_b32 s0, exec_lo, s0
	s_cbranch_execz .LBB6_1291
; %bb.1277:
	v_and_b32_e32 v0, 31, v31
	s_mov_b32 s2, exec_lo
	s_delay_alu instid0(VALU_DEP_1)
	v_cmpx_eq_u32_e32 0, v0
	s_cbranch_execz .LBB6_1290
; %bb.1278:
	s_mov_b32 s4, exec_lo
	s_mov_b32 s3, exec_lo
	v_mbcnt_lo_u32_b32 v0, s4, 0
	global_wb scope:SCOPE_DEV
	s_wait_storecnt_dscnt 0x0
	global_inv scope:SCOPE_DEV
	v_cmpx_eq_u32_e32 0, v0
	s_cbranch_execz .LBB6_1280
; %bb.1279:
	s_bcnt1_i32_b32 s4, s4
	s_delay_alu instid0(SALU_CYCLE_1)
	v_dual_mov_b32 v3, 0 :: v_dual_mov_b32 v2, s4
	s_wait_loadcnt 0x0
	ds_add_u64 v0, v[2:3]
	s_trap 2
.LBB6_1280:
	s_or_b32 exec_lo, exec_lo, s3
	s_trap 2
	ds_load_b64 v[2:3], v2
	s_wait_dscnt 0x0
	v_dual_mov_b32 v1, 0 :: v_dual_lshrrev_b32 v0, 5, v1
	s_mov_b32 s3, exec_lo
	s_delay_alu instid0(VALU_DEP_1) | instskip(NEXT) | instid1(VALU_DEP_1)
	v_add_nc_u64_e32 v[0:1], v[36:37], v[0:1]
	v_cmpx_lt_u64_e64 v[2:3], v[0:1]
	s_cbranch_execz .LBB6_1289
; %bb.1281:
	s_mov_b32 s4, 0
	s_mov_b32 s7, 0
                                        ; implicit-def: $sgpr5
                                        ; implicit-def: $sgpr6
	s_branch .LBB6_1283
.LBB6_1282:                             ;   in Loop: Header=BB6_1283 Depth=1
	s_or_b32 exec_lo, exec_lo, s11
	s_delay_alu instid0(SALU_CYCLE_1) | instskip(NEXT) | instid1(SALU_CYCLE_1)
	s_and_b32 s10, exec_lo, s12
	s_or_b32 s4, s10, s4
	s_and_not1_b32 s5, s5, exec_lo
	s_and_b32 s10, s6, exec_lo
	s_delay_alu instid0(SALU_CYCLE_1)
	s_or_b32 s5, s5, s10
	s_and_not1_b32 exec_lo, exec_lo, s4
	s_cbranch_execz .LBB6_1287
.LBB6_1283:                             ; =>This Inner Loop Header: Depth=1
	s_add_co_i32 s7, s7, 1
	s_delay_alu instid0(SALU_CYCLE_1) | instskip(SKIP_1) | instid1(SALU_CYCLE_1)
	s_cmp_lg_u32 s7, 0x2710
	s_cselect_b32 s10, -1, 0
	s_and_b32 vcc_lo, exec_lo, s10
	s_cbranch_vccz .LBB6_1285
; %bb.1284:                             ;   in Loop: Header=BB6_1283 Depth=1
	s_mov_b32 s12, -1
	s_or_b32 s6, s6, exec_lo
	s_and_saveexec_b32 s11, s10
	s_cbranch_execz .LBB6_1282
	s_branch .LBB6_1286
.LBB6_1285:                             ;   in Loop: Header=BB6_1283 Depth=1
	s_trap 2
	ds_load_b64 v[2:3], v2
	s_and_not1_b32 s10, s10, exec_lo
	s_mov_b32 s7, 0
	s_wait_loadcnt_dscnt 0x0
	flat_load_b32 v2, v[2:3] scope:SCOPE_SYS
	s_wait_loadcnt_dscnt 0x0
	global_inv scope:SCOPE_SYS
	v_cmp_eq_u32_e32 vcc_lo, 0, v2
	s_and_b32 s11, vcc_lo, exec_lo
	s_delay_alu instid0(SALU_CYCLE_1)
	s_or_b32 s10, s10, s11
	s_mov_b32 s12, -1
	s_or_b32 s6, s6, exec_lo
	s_and_saveexec_b32 s11, s10
	s_cbranch_execz .LBB6_1282
.LBB6_1286:                             ;   in Loop: Header=BB6_1283 Depth=1
	s_sleep 1
	s_trap 2
	ds_load_b64 v[2:3], v2
	s_wait_dscnt 0x0
	s_and_not1_b32 s6, s6, exec_lo
	v_cmp_ge_u64_e32 vcc_lo, v[2:3], v[0:1]
	s_or_not1_b32 s12, vcc_lo, exec_lo
	s_branch .LBB6_1282
.LBB6_1287:
	s_or_b32 exec_lo, exec_lo, s4
	s_and_saveexec_b32 s4, s5
	s_delay_alu instid0(SALU_CYCLE_1)
	s_xor_b32 s4, exec_lo, s4
	s_cbranch_execz .LBB6_1289
; %bb.1288:
	v_mov_b32_e32 v0, 1
	ds_store_b32 v1, v0
	s_trap 2
.LBB6_1289:
	s_or_b32 exec_lo, exec_lo, s3
	;;#ASMSTART
	s_wakeup
	;;#ASMEND
.LBB6_1290:
	s_or_b32 exec_lo, exec_lo, s2
.LBB6_1291:
	s_and_not1_saveexec_b32 s0, s0
	s_cbranch_execz .LBB6_1293
; %bb.1292:
	global_wb scope:SCOPE_DEV
	s_wait_storecnt 0x0
	s_wait_loadcnt_dscnt 0x0
	global_inv scope:SCOPE_DEV
	s_barrier_signal -1
	s_barrier_wait -1
.LBB6_1293:
	s_or_b32 exec_lo, exec_lo, s1
.LBB6_1294:
	s_and_not1_saveexec_b32 s21, s46
	s_cbranch_execz .LBB6_1296
; %bb.1295:
	s_get_pc_i64 s[0:1]
	s_add_nc_u64 s[0:1], s[0:1], __PRETTY_FUNCTION__._ZN10PrimitivesIm14FuncSumPostDivImE12FanSymmetricILi1EELi0E11ProtoSimpleILi2ELi2ELi0ELi4ELi0ELi0EELi0ELb0ELi0ELi0ELi0EEC2EiiPKiS8_PKvPvmhhhP15ncclDevWorkCollP14ncclDevWorkP2pii@rel64+4
	s_get_pc_i64 s[2:3]
	s_add_nc_u64 s[2:3], s[2:3], __assert_fail@rel64+4
	v_dual_mov_b32 v0, s0 :: v_dual_mov_b32 v1, s1
	s_swap_pc_i64 s[30:31], s[2:3]
	; divergent unreachable
.LBB6_1296:
	s_or_b32 exec_lo, exec_lo, s21
	s_clause 0x2e
	scratch_load_b32 v126, off, s33
	scratch_load_b32 v125, off, s33 offset:4
	scratch_load_b32 v124, off, s33 offset:8
	;; [unrolled: 1-line block ×46, first 2 shown]
	v_readlane_b32 s30, v127, 0
	v_readlane_b32 s31, v127, 1
	s_mov_b32 s32, s33
	s_wait_xcnt 0x0
	s_or_saveexec_b32 s0, -1
	scratch_load_b32 v127, off, s33 offset:224 ; 4-byte Folded Reload
	s_wait_xcnt 0x0
	s_mov_b32 exec_lo, s0
	s_mov_b32 s33, s89
	s_wait_loadcnt_dscnt 0x0
	s_set_pc_i64 s[30:31]
.Lfunc_end6:
	.size	_ZN12_GLOBAL__N_17runRingIm14FuncSumPostDivImE11ProtoSimpleILi2ELi2ELi0ELi4ELi0ELi0EELi0ELi0ELi4ELi0EEEviiP15ncclDevWorkColl, .Lfunc_end6-_ZN12_GLOBAL__N_17runRingIm14FuncSumPostDivImE11ProtoSimpleILi2ELi2ELi0ELi4ELi0ELi0EELi0ELi0ELi4ELi0EEEviiP15ncclDevWorkColl
                                        ; -- End function
	.set .L_ZN12_GLOBAL__N_17runRingIm14FuncSumPostDivImE11ProtoSimpleILi2ELi2ELi0ELi4ELi0ELi0EELi0ELi0ELi4ELi0EEEviiP15ncclDevWorkColl.num_vgpr, max(128, .L__assert_fail.num_vgpr)
	.set .L_ZN12_GLOBAL__N_17runRingIm14FuncSumPostDivImE11ProtoSimpleILi2ELi2ELi0ELi4ELi0ELi0EELi0ELi0ELi4ELi0EEEviiP15ncclDevWorkColl.num_agpr, max(0, .L__assert_fail.num_agpr)
	.set .L_ZN12_GLOBAL__N_17runRingIm14FuncSumPostDivImE11ProtoSimpleILi2ELi2ELi0ELi4ELi0ELi0EELi0ELi0ELi4ELi0EEEviiP15ncclDevWorkColl.numbered_sgpr, max(90, .L__assert_fail.numbered_sgpr)
	.set .L_ZN12_GLOBAL__N_17runRingIm14FuncSumPostDivImE11ProtoSimpleILi2ELi2ELi0ELi4ELi0ELi0EELi0ELi0ELi4ELi0EEEviiP15ncclDevWorkColl.num_named_barrier, max(0, .L__assert_fail.num_named_barrier)
	.set .L_ZN12_GLOBAL__N_17runRingIm14FuncSumPostDivImE11ProtoSimpleILi2ELi2ELi0ELi4ELi0ELi0EELi0ELi0ELi4ELi0EEEviiP15ncclDevWorkColl.private_seg_size, 240+max(.L__assert_fail.private_seg_size)
	.set .L_ZN12_GLOBAL__N_17runRingIm14FuncSumPostDivImE11ProtoSimpleILi2ELi2ELi0ELi4ELi0ELi0EELi0ELi0ELi4ELi0EEEviiP15ncclDevWorkColl.uses_vcc, or(1, .L__assert_fail.uses_vcc)
	.set .L_ZN12_GLOBAL__N_17runRingIm14FuncSumPostDivImE11ProtoSimpleILi2ELi2ELi0ELi4ELi0ELi0EELi0ELi0ELi4ELi0EEEviiP15ncclDevWorkColl.uses_flat_scratch, or(1, .L__assert_fail.uses_flat_scratch)
	.set .L_ZN12_GLOBAL__N_17runRingIm14FuncSumPostDivImE11ProtoSimpleILi2ELi2ELi0ELi4ELi0ELi0EELi0ELi0ELi4ELi0EEEviiP15ncclDevWorkColl.has_dyn_sized_stack, or(0, .L__assert_fail.has_dyn_sized_stack)
	.set .L_ZN12_GLOBAL__N_17runRingIm14FuncSumPostDivImE11ProtoSimpleILi2ELi2ELi0ELi4ELi0ELi0EELi0ELi0ELi4ELi0EEEviiP15ncclDevWorkColl.has_recursion, or(1, .L__assert_fail.has_recursion)
	.set .L_ZN12_GLOBAL__N_17runRingIm14FuncSumPostDivImE11ProtoSimpleILi2ELi2ELi0ELi4ELi0ELi0EELi0ELi0ELi4ELi0EEEviiP15ncclDevWorkColl.has_indirect_call, or(0, .L__assert_fail.has_indirect_call)
	.section	.AMDGPU.csdata,"",@progbits
; Function info:
; codeLenInByte = 78732
; TotalNumSgprs: 92
; NumVgprs: 128
; ScratchSize: 304
; MemoryBound: 1
	.text
	.p2align	2                               ; -- Begin function _Z54ncclDevFunc_AllReduce_RING_SIMPLE_SumPostDiv_u64_0_0_4v
	.type	_Z54ncclDevFunc_AllReduce_RING_SIMPLE_SumPostDiv_u64_0_0_4v,@function
_Z54ncclDevFunc_AllReduce_RING_SIMPLE_SumPostDiv_u64_0_0_4v: ; @_Z54ncclDevFunc_AllReduce_RING_SIMPLE_SumPostDiv_u64_0_0_4v
; %bb.0:
	s_wait_loadcnt_dscnt 0x0
	s_wait_kmcnt 0x0
	s_mov_b32 s0, s33
	s_mov_b32 s33, s32
	s_or_saveexec_b32 s1, -1
	scratch_store_b32 off, v42, s33 offset:12 ; 4-byte Folded Spill
	s_wait_xcnt 0x0
	s_mov_b32 exec_lo, s1
	v_writelane_b32 v42, s0, 2
	s_add_co_i32 s32, s32, 32
	s_clause 0x2
	scratch_store_b32 off, v40, s33 offset:8
	; meta instruction
	scratch_store_b32 off, v41, s33 offset:4
	; meta instruction
	scratch_store_b32 off, v127, s33
	v_writelane_b32 v42, s30, 0
	v_writelane_b32 v42, s31, 1
	s_trap 2
	ds_load_b32 v0, v0
	s_wait_xcnt 0x2
	v_mov_b32_e32 v40, v31
	s_mov_b32 s92, s12
	s_mov_b64 s[90:91], s[8:9]
	s_mov_b32 s2, exec_lo
	s_wait_xcnt 0x1
	v_and_b32_e32 v41, 0x3ff, v40
	s_wait_dscnt 0x0
	s_wait_xcnt 0x0
	s_delay_alu instid0(VALU_DEP_1)
	v_cmpx_lt_i32_e64 v41, v0
	s_cbranch_execz .LBB7_5
; %bb.1:
	s_load_b32 s0, s[90:91], 0x0
	s_bfe_u32 s1, ttmp6, 0x4000c
	s_and_b32 s3, ttmp6, 15
	s_add_co_i32 s1, s1, 1
	s_getreg_b32 s4, hwreg(HW_REG_IB_STS2, 6, 4)
	s_mul_i32 s1, ttmp9, s1
	v_mov_b32_e32 v2, v41
	s_add_co_i32 s3, s3, s1
	s_cmp_eq_u32 s4, 0
                                        ; implicit-def: $vgpr3
	s_cselect_b32 s1, ttmp9, s3
	s_wait_kmcnt 0x0
	s_cmp_lt_u32 s1, s0
	s_mov_b32 s1, 0
	s_cselect_b32 s0, 12, 18
	s_delay_alu instid0(SALU_CYCLE_1)
	s_add_nc_u64 s[4:5], s[90:91], s[0:1]
	s_load_u16 s0, s[4:5], 0x0
	s_trap 2
	ds_load_b32 v1, v0
	s_wait_dscnt 0x0
	s_wait_kmcnt 0x0
	v_mul_lo_u32 v1, v1, s0
	s_branch .LBB7_3
.LBB7_2:                                ;   in Loop: Header=BB7_3 Depth=1
	s_wait_xcnt 0x0
	s_or_b32 exec_lo, exec_lo, s3
	v_dual_add_nc_u32 v2, s0, v2 :: v_dual_add_nc_u32 v3, v3, v1
	s_delay_alu instid0(VALU_DEP_1) | instskip(SKIP_1) | instid1(SALU_CYCLE_1)
	v_cmp_ge_i32_e32 vcc_lo, v2, v0
	s_or_b32 s1, vcc_lo, s1
	s_and_not1_b32 exec_lo, exec_lo, s1
	s_cbranch_execz .LBB7_5
.LBB7_3:                                ; =>This Inner Loop Header: Depth=1
	ds_load_b32 v4, v3
	s_mov_b32 s3, exec_lo
	s_wait_dscnt 0x0
	v_and_b32_e32 v4, 0x1000000, v4
	s_delay_alu instid0(VALU_DEP_1)
	v_cmpx_ne_u32_e32 0, v4
	s_cbranch_execz .LBB7_2
; %bb.4:                                ;   in Loop: Header=BB7_3 Depth=1
	ds_load_b64 v[4:5], v3 offset:104
	s_wait_dscnt 0x0
	flat_load_b64 v[4:5], v[4:5]
	s_wait_loadcnt_dscnt 0x0
	ds_store_b64 v3, v[4:5] offset:104
	s_branch .LBB7_2
.LBB7_5:
	s_or_b32 exec_lo, exec_lo, s2
	s_wait_storecnt_dscnt 0x0
	s_barrier_signal -1
	s_barrier_wait -1
	s_trap 2
	ds_load_b32 v0, v0
	s_wait_dscnt 0x0
	v_cmp_gt_i32_e32 vcc_lo, 1, v0
	s_cbranch_vccnz .LBB7_13
; %bb.6:
	s_mov_b32 s93, 0
	s_get_pc_i64 s[94:95]
	s_add_nc_u64 s[94:95], s[94:95], _ZN12_GLOBAL__N_17runRingIm14FuncSumPostDivImE11ProtoSimpleILi2ELi2ELi0ELi4ELi0ELi0EELi0ELi0ELi4ELi0EEEviiP15ncclDevWorkColl@rel64+4
	s_branch .LBB7_8
.LBB7_7:                                ;   in Loop: Header=BB7_8 Depth=1
	s_or_b32 exec_lo, exec_lo, vcc_hi
	s_trap 2
	ds_load_b32 v0, v0
	s_add_co_i32 s93, s93, 1
	s_wait_dscnt 0x0
	v_cmp_lt_i32_e32 vcc_lo, s93, v0
	s_cbranch_vccz .LBB7_13
.LBB7_8:                                ; =>This Inner Loop Header: Depth=1
	s_trap 2
	ds_load_b32 v0, v0
	s_cmp_eq_u32 s93, 0
	s_cbranch_scc1 .LBB7_11
; %bb.9:                                ;   in Loop: Header=BB7_8 Depth=1
	s_trap 2
	s_wait_dscnt 0x0
	ds_load_b32 v1, v0
	s_wait_dscnt 0x0
	v_xor_b32_e32 v1, v1, v0
	s_delay_alu instid0(VALU_DEP_1) | instskip(NEXT) | instid1(VALU_DEP_1)
	v_and_b32_e32 v1, 0xff0000, v1
	v_cmp_eq_u32_e32 vcc_lo, 0, v1
	s_cbranch_vccnz .LBB7_11
; %bb.10:                               ;   in Loop: Header=BB7_8 Depth=1
	s_barrier_signal -1
	s_barrier_wait -1
	ds_load_b32 v0, v0
.LBB7_11:                               ;   in Loop: Header=BB7_8 Depth=1
	s_wait_dscnt 0x0
	v_lshrrev_b32_e32 v0, 11, v0
	s_mov_b32 vcc_hi, exec_lo
	s_delay_alu instid0(VALU_DEP_1) | instskip(NEXT) | instid1(VALU_DEP_1)
	v_and_b32_e32 v1, 0x1fe0, v0
	v_cmpx_lt_u32_e64 v41, v1
	s_cbranch_execz .LBB7_7
; %bb.12:                               ;   in Loop: Header=BB7_8 Depth=1
	s_mov_b64 s[0:1], src_shared_base
	v_dual_mov_b32 v31, v40 :: v_dual_mov_b32 v0, v41
	v_mov_b32_e32 v3, s1
	s_mov_b64 s[8:9], s[90:91]
	s_mov_b32 s12, s92
	s_swap_pc_i64 s[30:31], s[94:95]
	s_branch .LBB7_7
.LBB7_13:
	s_clause 0x2
	scratch_load_b32 v127, off, s33
	scratch_load_b32 v41, off, s33 offset:4
	scratch_load_b32 v40, off, s33 offset:8
	v_readlane_b32 s30, v42, 0
	v_readlane_b32 s31, v42, 1
	s_mov_b32 s32, s33
	v_readlane_b32 s0, v42, 2
	s_wait_xcnt 0x0
	s_or_saveexec_b32 s1, -1
	scratch_load_b32 v42, off, s33 offset:12 ; 4-byte Folded Reload
	s_wait_xcnt 0x0
	s_mov_b32 exec_lo, s1
	s_mov_b32 s33, s0
	s_wait_loadcnt 0x0
	s_set_pc_i64 s[30:31]
.Lfunc_end7:
	.size	_Z54ncclDevFunc_AllReduce_RING_SIMPLE_SumPostDiv_u64_0_0_4v, .Lfunc_end7-_Z54ncclDevFunc_AllReduce_RING_SIMPLE_SumPostDiv_u64_0_0_4v
                                        ; -- End function
	.set .L_Z54ncclDevFunc_AllReduce_RING_SIMPLE_SumPostDiv_u64_0_0_4v.num_vgpr, max(128, .L_ZN12_GLOBAL__N_17runRingIm14FuncSumPostDivImE11ProtoSimpleILi2ELi2ELi0ELi4ELi0ELi0EELi0ELi0ELi4ELi0EEEviiP15ncclDevWorkColl.num_vgpr)
	.set .L_Z54ncclDevFunc_AllReduce_RING_SIMPLE_SumPostDiv_u64_0_0_4v.num_agpr, max(0, .L_ZN12_GLOBAL__N_17runRingIm14FuncSumPostDivImE11ProtoSimpleILi2ELi2ELi0ELi4ELi0ELi0EELi0ELi0ELi4ELi0EEEviiP15ncclDevWorkColl.num_agpr)
	.set .L_Z54ncclDevFunc_AllReduce_RING_SIMPLE_SumPostDiv_u64_0_0_4v.numbered_sgpr, max(96, .L_ZN12_GLOBAL__N_17runRingIm14FuncSumPostDivImE11ProtoSimpleILi2ELi2ELi0ELi4ELi0ELi0EELi0ELi0ELi4ELi0EEEviiP15ncclDevWorkColl.numbered_sgpr)
	.set .L_Z54ncclDevFunc_AllReduce_RING_SIMPLE_SumPostDiv_u64_0_0_4v.num_named_barrier, max(0, .L_ZN12_GLOBAL__N_17runRingIm14FuncSumPostDivImE11ProtoSimpleILi2ELi2ELi0ELi4ELi0ELi0EELi0ELi0ELi4ELi0EEEviiP15ncclDevWorkColl.num_named_barrier)
	.set .L_Z54ncclDevFunc_AllReduce_RING_SIMPLE_SumPostDiv_u64_0_0_4v.private_seg_size, 32+max(.L_ZN12_GLOBAL__N_17runRingIm14FuncSumPostDivImE11ProtoSimpleILi2ELi2ELi0ELi4ELi0ELi0EELi0ELi0ELi4ELi0EEEviiP15ncclDevWorkColl.private_seg_size)
	.set .L_Z54ncclDevFunc_AllReduce_RING_SIMPLE_SumPostDiv_u64_0_0_4v.uses_vcc, or(1, .L_ZN12_GLOBAL__N_17runRingIm14FuncSumPostDivImE11ProtoSimpleILi2ELi2ELi0ELi4ELi0ELi0EELi0ELi0ELi4ELi0EEEviiP15ncclDevWorkColl.uses_vcc)
	.set .L_Z54ncclDevFunc_AllReduce_RING_SIMPLE_SumPostDiv_u64_0_0_4v.uses_flat_scratch, or(1, .L_ZN12_GLOBAL__N_17runRingIm14FuncSumPostDivImE11ProtoSimpleILi2ELi2ELi0ELi4ELi0ELi0EELi0ELi0ELi4ELi0EEEviiP15ncclDevWorkColl.uses_flat_scratch)
	.set .L_Z54ncclDevFunc_AllReduce_RING_SIMPLE_SumPostDiv_u64_0_0_4v.has_dyn_sized_stack, or(0, .L_ZN12_GLOBAL__N_17runRingIm14FuncSumPostDivImE11ProtoSimpleILi2ELi2ELi0ELi4ELi0ELi0EELi0ELi0ELi4ELi0EEEviiP15ncclDevWorkColl.has_dyn_sized_stack)
	.set .L_Z54ncclDevFunc_AllReduce_RING_SIMPLE_SumPostDiv_u64_0_0_4v.has_recursion, or(1, .L_ZN12_GLOBAL__N_17runRingIm14FuncSumPostDivImE11ProtoSimpleILi2ELi2ELi0ELi4ELi0ELi0EELi0ELi0ELi4ELi0EEEviiP15ncclDevWorkColl.has_recursion)
	.set .L_Z54ncclDevFunc_AllReduce_RING_SIMPLE_SumPostDiv_u64_0_0_4v.has_indirect_call, or(0, .L_ZN12_GLOBAL__N_17runRingIm14FuncSumPostDivImE11ProtoSimpleILi2ELi2ELi0ELi4ELi0ELi0EELi0ELi0ELi4ELi0EEEviiP15ncclDevWorkColl.has_indirect_call)
	.section	.AMDGPU.csdata,"",@progbits
; Function info:
; codeLenInByte = 756
; TotalNumSgprs: 98
; NumVgprs: 128
; ScratchSize: 336
; MemoryBound: 0
	.text
	.p2alignl 7, 3214868480
	.fill 96, 4, 3214868480
	.section	.AMDGPU.gpr_maximums,"",@progbits
	.set amdgpu.max_num_vgpr, 128
	.set amdgpu.max_num_agpr, 0
	.set amdgpu.max_num_sgpr, 96
	.text
	.type	__const.__assert_fail.fmt,@object ; @__const.__assert_fail.fmt
	.section	.rodata.str1.16,"aMS",@progbits,1
	.p2align	4, 0x0
__const.__assert_fail.fmt:
	.asciz	"%s:%u: %s: Device-side assertion `%s' failed.\n"
	.size	__const.__assert_fail.fmt, 47

	.type	.str.3,@object                  ; @.str.3
	.section	.rodata.str1.1,"aMS",@progbits,1
.str.3:
	.asciz	"2*(nrecv+nsend) <= nthreads"
	.size	.str.3, 28

	.type	.str.4,@object                  ; @.str.4
.str.4:
	.asciz	"/root/src/amdgpu-assembly/repos/ROCm__rccl/hipify/src/device/prims_simple.h"
	.size	.str.4, 76

	.type	__PRETTY_FUNCTION__._ZN10PrimitivesIm14FuncSumPostDivImE12FanSymmetricILi1EELi0E11ProtoSimpleILi2ELi2ELi0ELi1ELi0ELi0EELi0ELb0ELi0ELi0ELi0EEC2EiiPKiS8_PKvPvmhhhP15ncclDevWorkCollP14ncclDevWorkP2pii,@object ; @__PRETTY_FUNCTION__._ZN10PrimitivesIm14FuncSumPostDivImE12FanSymmetricILi1EELi0E11ProtoSimpleILi2ELi2ELi0ELi1ELi0ELi0EELi0ELb0ELi0ELi0ELi0EEC2EiiPKiS8_PKvPvmhhhP15ncclDevWorkCollP14ncclDevWorkP2pii
__PRETTY_FUNCTION__._ZN10PrimitivesIm14FuncSumPostDivImE12FanSymmetricILi1EELi0E11ProtoSimpleILi2ELi2ELi0ELi1ELi0ELi0EELi0ELb0ELi0ELi0ELi0EEC2EiiPKiS8_PKvPvmhhhP15ncclDevWorkCollP14ncclDevWorkP2pii:
	.asciz	"Primitives<unsigned long, FuncSumPostDiv<unsigned long>, FanSymmetric<1>, 0, ProtoSimple<2, 2, 0, 1>, 0>::Primitives(int, int, const int *, const int *, const void *, void *, uint64_t, uint8_t, uint8_t, uint8_t, struct ncclDevWorkColl *, struct ncclDevWorkP2p *, int, int) [T = unsigned long, RedOp = FuncSumPostDiv<unsigned long>, Fan = FanSymmetric<1>, Direct = 0, Proto = ProtoSimple<2, 2, 0, 1>, P2p = 0, isNetOffload = false, Metadata = 0, Pipeline = 0, useAcc = 0]"
	.size	__PRETTY_FUNCTION__._ZN10PrimitivesIm14FuncSumPostDivImE12FanSymmetricILi1EELi0E11ProtoSimpleILi2ELi2ELi0ELi1ELi0ELi0EELi0ELb0ELi0ELi0ELi0EEC2EiiPKiS8_PKvPvmhhhP15ncclDevWorkCollP14ncclDevWorkP2pii, 471

	.type	__PRETTY_FUNCTION__._ZN10PrimitivesIm14FuncSumPostDivImE12FanSymmetricILi1EELi0E11ProtoSimpleILi2ELi2ELi0ELi2ELi0ELi0EELi0ELb0ELi0ELi0ELi0EEC2EiiPKiS8_PKvPvmhhhP15ncclDevWorkCollP14ncclDevWorkP2pii,@object ; @__PRETTY_FUNCTION__._ZN10PrimitivesIm14FuncSumPostDivImE12FanSymmetricILi1EELi0E11ProtoSimpleILi2ELi2ELi0ELi2ELi0ELi0EELi0ELb0ELi0ELi0ELi0EEC2EiiPKiS8_PKvPvmhhhP15ncclDevWorkCollP14ncclDevWorkP2pii
__PRETTY_FUNCTION__._ZN10PrimitivesIm14FuncSumPostDivImE12FanSymmetricILi1EELi0E11ProtoSimpleILi2ELi2ELi0ELi2ELi0ELi0EELi0ELb0ELi0ELi0ELi0EEC2EiiPKiS8_PKvPvmhhhP15ncclDevWorkCollP14ncclDevWorkP2pii:
	.asciz	"Primitives<unsigned long, FuncSumPostDiv<unsigned long>, FanSymmetric<1>, 0, ProtoSimple<2, 2, 0, 2>, 0>::Primitives(int, int, const int *, const int *, const void *, void *, uint64_t, uint8_t, uint8_t, uint8_t, struct ncclDevWorkColl *, struct ncclDevWorkP2p *, int, int) [T = unsigned long, RedOp = FuncSumPostDiv<unsigned long>, Fan = FanSymmetric<1>, Direct = 0, Proto = ProtoSimple<2, 2, 0, 2>, P2p = 0, isNetOffload = false, Metadata = 0, Pipeline = 0, useAcc = 0]"
	.size	__PRETTY_FUNCTION__._ZN10PrimitivesIm14FuncSumPostDivImE12FanSymmetricILi1EELi0E11ProtoSimpleILi2ELi2ELi0ELi2ELi0ELi0EELi0ELb0ELi0ELi0ELi0EEC2EiiPKiS8_PKvPvmhhhP15ncclDevWorkCollP14ncclDevWorkP2pii, 471

	.type	__PRETTY_FUNCTION__._ZN10PrimitivesIm14FuncSumPostDivImE12FanSymmetricILi1EELi0E11ProtoSimpleILi2ELi2ELi0ELi4ELi0ELi0EELi0ELb0ELi0ELi0ELi0EEC2EiiPKiS8_PKvPvmhhhP15ncclDevWorkCollP14ncclDevWorkP2pii,@object ; @__PRETTY_FUNCTION__._ZN10PrimitivesIm14FuncSumPostDivImE12FanSymmetricILi1EELi0E11ProtoSimpleILi2ELi2ELi0ELi4ELi0ELi0EELi0ELb0ELi0ELi0ELi0EEC2EiiPKiS8_PKvPvmhhhP15ncclDevWorkCollP14ncclDevWorkP2pii
__PRETTY_FUNCTION__._ZN10PrimitivesIm14FuncSumPostDivImE12FanSymmetricILi1EELi0E11ProtoSimpleILi2ELi2ELi0ELi4ELi0ELi0EELi0ELb0ELi0ELi0ELi0EEC2EiiPKiS8_PKvPvmhhhP15ncclDevWorkCollP14ncclDevWorkP2pii:
	.asciz	"Primitives<unsigned long, FuncSumPostDiv<unsigned long>, FanSymmetric<1>, 0, ProtoSimple<2, 2, 0, 4>, 0>::Primitives(int, int, const int *, const int *, const void *, void *, uint64_t, uint8_t, uint8_t, uint8_t, struct ncclDevWorkColl *, struct ncclDevWorkP2p *, int, int) [T = unsigned long, RedOp = FuncSumPostDiv<unsigned long>, Fan = FanSymmetric<1>, Direct = 0, Proto = ProtoSimple<2, 2, 0, 4>, P2p = 0, isNetOffload = false, Metadata = 0, Pipeline = 0, useAcc = 0]"
	.size	__PRETTY_FUNCTION__._ZN10PrimitivesIm14FuncSumPostDivImE12FanSymmetricILi1EELi0E11ProtoSimpleILi2ELi2ELi0ELi4ELi0ELi0EELi0ELb0ELi0ELi0ELi0EEC2EiiPKiS8_PKvPvmhhhP15ncclDevWorkCollP14ncclDevWorkP2pii, 471

	.type	__hip_cuid_5433f6dca858422,@object ; @__hip_cuid_5433f6dca858422
	.section	.bss,"aw",@nobits
	.globl	__hip_cuid_5433f6dca858422
__hip_cuid_5433f6dca858422:
	.byte	0                               ; 0x0
	.size	__hip_cuid_5433f6dca858422, 1

	.ident	"AMD clang version 22.0.0git (https://github.com/RadeonOpenCompute/llvm-project roc-7.2.4 26084 f58b06dce1f9c15707c5f808fd002e18c2accf7e)"
	.section	".note.GNU-stack","",@progbits
	.addrsig
	.addrsig_sym _Z54ncclDevFunc_AllReduce_RING_SIMPLE_SumPostDiv_u64_0_0_1v
	.addrsig_sym _Z54ncclDevFunc_AllReduce_RING_SIMPLE_SumPostDiv_u64_0_0_2v
	.addrsig_sym _Z54ncclDevFunc_AllReduce_RING_SIMPLE_SumPostDiv_u64_0_0_4v
	.addrsig_sym ncclShmem
	.addrsig_sym __hip_cuid_5433f6dca858422
	.amdgpu_metadata
---
amdhsa.kernels:  []
amdhsa.target:   amdgcn-amd-amdhsa--gfx1250
amdhsa.version:
  - 1
  - 2
...

	.end_amdgpu_metadata
